;; amdgpu-corpus repo=ROCm/rocFFT kind=compiled arch=gfx906 opt=O3
	.text
	.amdgcn_target "amdgcn-amd-amdhsa--gfx906"
	.amdhsa_code_object_version 6
	.protected	fft_rtc_fwd_len1768_factors_17_13_8_wgs_136_tpt_136_halfLds_dp_op_CI_CI_unitstride_sbrr_dirReg ; -- Begin function fft_rtc_fwd_len1768_factors_17_13_8_wgs_136_tpt_136_halfLds_dp_op_CI_CI_unitstride_sbrr_dirReg
	.globl	fft_rtc_fwd_len1768_factors_17_13_8_wgs_136_tpt_136_halfLds_dp_op_CI_CI_unitstride_sbrr_dirReg
	.p2align	8
	.type	fft_rtc_fwd_len1768_factors_17_13_8_wgs_136_tpt_136_halfLds_dp_op_CI_CI_unitstride_sbrr_dirReg,@function
fft_rtc_fwd_len1768_factors_17_13_8_wgs_136_tpt_136_halfLds_dp_op_CI_CI_unitstride_sbrr_dirReg: ; @fft_rtc_fwd_len1768_factors_17_13_8_wgs_136_tpt_136_halfLds_dp_op_CI_CI_unitstride_sbrr_dirReg
; %bb.0:
	s_load_dwordx4 s[12:15], s[4:5], 0x58
	s_load_dwordx4 s[8:11], s[4:5], 0x0
	;; [unrolled: 1-line block ×3, first 2 shown]
	v_mul_u32_u24_e32 v1, 0x1e2, v0
	v_add_u32_sdwa v5, s6, v1 dst_sel:DWORD dst_unused:UNUSED_PAD src0_sel:DWORD src1_sel:WORD_1
	v_mov_b32_e32 v3, 0
	s_waitcnt lgkmcnt(0)
	v_cmp_lt_u64_e64 s[0:1], s[10:11], 2
	v_mov_b32_e32 v1, 0
	v_mov_b32_e32 v6, v3
	s_and_b64 vcc, exec, s[0:1]
	v_mov_b32_e32 v2, 0
	s_cbranch_vccnz .LBB0_8
; %bb.1:
	s_load_dwordx2 s[0:1], s[4:5], 0x10
	s_add_u32 s2, s18, 8
	s_addc_u32 s3, s19, 0
	s_add_u32 s6, s16, 8
	v_mov_b32_e32 v1, 0
	s_addc_u32 s7, s17, 0
	v_mov_b32_e32 v2, 0
	s_waitcnt lgkmcnt(0)
	s_add_u32 s20, s0, 8
	v_mov_b32_e32 v103, v2
	s_addc_u32 s21, s1, 0
	s_mov_b64 s[22:23], 1
	v_mov_b32_e32 v102, v1
.LBB0_2:                                ; =>This Inner Loop Header: Depth=1
	s_load_dwordx2 s[24:25], s[20:21], 0x0
                                        ; implicit-def: $vgpr106_vgpr107
	s_waitcnt lgkmcnt(0)
	v_or_b32_e32 v4, s25, v6
	v_cmp_ne_u64_e32 vcc, 0, v[3:4]
	s_and_saveexec_b64 s[0:1], vcc
	s_xor_b64 s[26:27], exec, s[0:1]
	s_cbranch_execz .LBB0_4
; %bb.3:                                ;   in Loop: Header=BB0_2 Depth=1
	v_cvt_f32_u32_e32 v4, s24
	v_cvt_f32_u32_e32 v7, s25
	s_sub_u32 s0, 0, s24
	s_subb_u32 s1, 0, s25
	v_mac_f32_e32 v4, 0x4f800000, v7
	v_rcp_f32_e32 v4, v4
	v_mul_f32_e32 v4, 0x5f7ffffc, v4
	v_mul_f32_e32 v7, 0x2f800000, v4
	v_trunc_f32_e32 v7, v7
	v_mac_f32_e32 v4, 0xcf800000, v7
	v_cvt_u32_f32_e32 v7, v7
	v_cvt_u32_f32_e32 v4, v4
	v_mul_lo_u32 v8, s0, v7
	v_mul_hi_u32 v9, s0, v4
	v_mul_lo_u32 v11, s1, v4
	v_mul_lo_u32 v10, s0, v4
	v_add_u32_e32 v8, v9, v8
	v_add_u32_e32 v8, v8, v11
	v_mul_hi_u32 v9, v4, v10
	v_mul_lo_u32 v11, v4, v8
	v_mul_hi_u32 v13, v4, v8
	v_mul_hi_u32 v12, v7, v10
	v_mul_lo_u32 v10, v7, v10
	v_mul_hi_u32 v14, v7, v8
	v_add_co_u32_e32 v9, vcc, v9, v11
	v_addc_co_u32_e32 v11, vcc, 0, v13, vcc
	v_mul_lo_u32 v8, v7, v8
	v_add_co_u32_e32 v9, vcc, v9, v10
	v_addc_co_u32_e32 v9, vcc, v11, v12, vcc
	v_addc_co_u32_e32 v10, vcc, 0, v14, vcc
	v_add_co_u32_e32 v8, vcc, v9, v8
	v_addc_co_u32_e32 v9, vcc, 0, v10, vcc
	v_add_co_u32_e32 v4, vcc, v4, v8
	v_addc_co_u32_e32 v7, vcc, v7, v9, vcc
	v_mul_lo_u32 v8, s0, v7
	v_mul_hi_u32 v9, s0, v4
	v_mul_lo_u32 v10, s1, v4
	v_mul_lo_u32 v11, s0, v4
	v_add_u32_e32 v8, v9, v8
	v_add_u32_e32 v8, v8, v10
	v_mul_lo_u32 v12, v4, v8
	v_mul_hi_u32 v13, v4, v11
	v_mul_hi_u32 v14, v4, v8
	v_mul_hi_u32 v10, v7, v11
	v_mul_lo_u32 v11, v7, v11
	v_mul_hi_u32 v9, v7, v8
	v_add_co_u32_e32 v12, vcc, v13, v12
	v_addc_co_u32_e32 v13, vcc, 0, v14, vcc
	v_mul_lo_u32 v8, v7, v8
	v_add_co_u32_e32 v11, vcc, v12, v11
	v_addc_co_u32_e32 v10, vcc, v13, v10, vcc
	v_addc_co_u32_e32 v9, vcc, 0, v9, vcc
	v_add_co_u32_e32 v8, vcc, v10, v8
	v_addc_co_u32_e32 v9, vcc, 0, v9, vcc
	v_add_co_u32_e32 v4, vcc, v4, v8
	v_addc_co_u32_e32 v9, vcc, v7, v9, vcc
	v_mad_u64_u32 v[7:8], s[0:1], v5, v9, 0
	v_mul_hi_u32 v10, v5, v4
	v_add_co_u32_e32 v11, vcc, v10, v7
	v_addc_co_u32_e32 v12, vcc, 0, v8, vcc
	v_mad_u64_u32 v[7:8], s[0:1], v6, v4, 0
	v_mad_u64_u32 v[9:10], s[0:1], v6, v9, 0
	v_add_co_u32_e32 v4, vcc, v11, v7
	v_addc_co_u32_e32 v4, vcc, v12, v8, vcc
	v_addc_co_u32_e32 v7, vcc, 0, v10, vcc
	v_add_co_u32_e32 v4, vcc, v4, v9
	v_addc_co_u32_e32 v9, vcc, 0, v7, vcc
	v_mul_lo_u32 v10, s25, v4
	v_mul_lo_u32 v11, s24, v9
	v_mad_u64_u32 v[7:8], s[0:1], s24, v4, 0
	v_add3_u32 v8, v8, v11, v10
	v_sub_u32_e32 v10, v6, v8
	v_mov_b32_e32 v11, s25
	v_sub_co_u32_e32 v7, vcc, v5, v7
	v_subb_co_u32_e64 v10, s[0:1], v10, v11, vcc
	v_subrev_co_u32_e64 v11, s[0:1], s24, v7
	v_subbrev_co_u32_e64 v10, s[0:1], 0, v10, s[0:1]
	v_cmp_le_u32_e64 s[0:1], s25, v10
	v_cndmask_b32_e64 v12, 0, -1, s[0:1]
	v_cmp_le_u32_e64 s[0:1], s24, v11
	v_cndmask_b32_e64 v11, 0, -1, s[0:1]
	v_cmp_eq_u32_e64 s[0:1], s25, v10
	v_cndmask_b32_e64 v10, v12, v11, s[0:1]
	v_add_co_u32_e64 v11, s[0:1], 2, v4
	v_addc_co_u32_e64 v12, s[0:1], 0, v9, s[0:1]
	v_add_co_u32_e64 v13, s[0:1], 1, v4
	v_addc_co_u32_e64 v14, s[0:1], 0, v9, s[0:1]
	v_subb_co_u32_e32 v8, vcc, v6, v8, vcc
	v_cmp_ne_u32_e64 s[0:1], 0, v10
	v_cmp_le_u32_e32 vcc, s25, v8
	v_cndmask_b32_e64 v10, v14, v12, s[0:1]
	v_cndmask_b32_e64 v12, 0, -1, vcc
	v_cmp_le_u32_e32 vcc, s24, v7
	v_cndmask_b32_e64 v7, 0, -1, vcc
	v_cmp_eq_u32_e32 vcc, s25, v8
	v_cndmask_b32_e32 v7, v12, v7, vcc
	v_cmp_ne_u32_e32 vcc, 0, v7
	v_cndmask_b32_e64 v7, v13, v11, s[0:1]
	v_cndmask_b32_e32 v107, v9, v10, vcc
	v_cndmask_b32_e32 v106, v4, v7, vcc
.LBB0_4:                                ;   in Loop: Header=BB0_2 Depth=1
	s_andn2_saveexec_b64 s[0:1], s[26:27]
	s_cbranch_execz .LBB0_6
; %bb.5:                                ;   in Loop: Header=BB0_2 Depth=1
	v_cvt_f32_u32_e32 v4, s24
	s_sub_i32 s26, 0, s24
	v_mov_b32_e32 v107, v3
	v_rcp_iflag_f32_e32 v4, v4
	v_mul_f32_e32 v4, 0x4f7ffffe, v4
	v_cvt_u32_f32_e32 v4, v4
	v_mul_lo_u32 v7, s26, v4
	v_mul_hi_u32 v7, v4, v7
	v_add_u32_e32 v4, v4, v7
	v_mul_hi_u32 v4, v5, v4
	v_mul_lo_u32 v7, v4, s24
	v_add_u32_e32 v8, 1, v4
	v_sub_u32_e32 v7, v5, v7
	v_subrev_u32_e32 v9, s24, v7
	v_cmp_le_u32_e32 vcc, s24, v7
	v_cndmask_b32_e32 v7, v7, v9, vcc
	v_cndmask_b32_e32 v4, v4, v8, vcc
	v_add_u32_e32 v8, 1, v4
	v_cmp_le_u32_e32 vcc, s24, v7
	v_cndmask_b32_e32 v106, v4, v8, vcc
.LBB0_6:                                ;   in Loop: Header=BB0_2 Depth=1
	s_or_b64 exec, exec, s[0:1]
	v_mul_lo_u32 v4, v107, s24
	v_mul_lo_u32 v9, v106, s25
	v_mad_u64_u32 v[7:8], s[0:1], v106, s24, 0
	s_load_dwordx2 s[0:1], s[6:7], 0x0
	s_load_dwordx2 s[24:25], s[2:3], 0x0
	v_add3_u32 v4, v8, v9, v4
	v_sub_co_u32_e32 v5, vcc, v5, v7
	v_subb_co_u32_e32 v4, vcc, v6, v4, vcc
	s_waitcnt lgkmcnt(0)
	v_mul_lo_u32 v6, s0, v4
	v_mul_lo_u32 v7, s1, v5
	v_mad_u64_u32 v[1:2], s[0:1], s0, v5, v[1:2]
	v_mul_lo_u32 v4, s24, v4
	v_mul_lo_u32 v8, s25, v5
	v_mad_u64_u32 v[102:103], s[0:1], s24, v5, v[102:103]
	s_add_u32 s22, s22, 1
	s_addc_u32 s23, s23, 0
	s_add_u32 s2, s2, 8
	v_add3_u32 v103, v8, v103, v4
	s_addc_u32 s3, s3, 0
	v_mov_b32_e32 v4, s10
	s_add_u32 s6, s6, 8
	v_mov_b32_e32 v5, s11
	s_addc_u32 s7, s7, 0
	v_cmp_ge_u64_e32 vcc, s[22:23], v[4:5]
	s_add_u32 s20, s20, 8
	v_add3_u32 v2, v7, v2, v6
	s_addc_u32 s21, s21, 0
	s_cbranch_vccnz .LBB0_9
; %bb.7:                                ;   in Loop: Header=BB0_2 Depth=1
	v_mov_b32_e32 v5, v106
	v_mov_b32_e32 v6, v107
	s_branch .LBB0_2
.LBB0_8:
	v_mov_b32_e32 v103, v2
	v_mov_b32_e32 v107, v6
	;; [unrolled: 1-line block ×4, first 2 shown]
.LBB0_9:
	s_load_dwordx2 s[0:1], s[4:5], 0x28
	s_mov_b32 s4, 0x1e1e1e2
	v_mul_hi_u32 v3, v0, s4
	s_lshl_b64 s[2:3], s[10:11], 3
	s_add_u32 s4, s18, s2
	s_waitcnt lgkmcnt(0)
	v_cmp_gt_u64_e32 vcc, s[0:1], v[106:107]
	v_mul_u32_u24_e32 v3, 0x88, v3
	v_sub_u32_e32 v104, v0, v3
	s_movk_i32 s0, 0x68
	v_cmp_gt_u32_e64 s[0:1], s0, v104
	s_addc_u32 s5, s19, s3
	s_and_b64 s[10:11], vcc, s[0:1]
                                        ; implicit-def: $vgpr16_vgpr17
                                        ; implicit-def: $vgpr32_vgpr33
                                        ; implicit-def: $vgpr48_vgpr49
                                        ; implicit-def: $vgpr76_vgpr77
                                        ; implicit-def: $vgpr56_vgpr57
                                        ; implicit-def: $vgpr44_vgpr45
                                        ; implicit-def: $vgpr36_vgpr37
                                        ; implicit-def: $vgpr28_vgpr29
                                        ; implicit-def: $vgpr20_vgpr21
                                        ; implicit-def: $vgpr24_vgpr25
                                        ; implicit-def: $vgpr40_vgpr41
                                        ; implicit-def: $vgpr64_vgpr65
                                        ; implicit-def: $vgpr68_vgpr69
                                        ; implicit-def: $vgpr72_vgpr73
                                        ; implicit-def: $vgpr52_vgpr53
                                        ; implicit-def: $vgpr60_vgpr61
                                        ; implicit-def: $vgpr12_vgpr13
	s_and_saveexec_b64 s[6:7], s[10:11]
	s_cbranch_execz .LBB0_11
; %bb.10:
	s_add_u32 s2, s16, s2
	s_addc_u32 s3, s17, s3
	s_load_dwordx2 s[2:3], s[2:3], 0x0
	v_mov_b32_e32 v6, s13
	v_mov_b32_e32 v105, 0
	v_or_b32_e32 v18, 0x680, v104
	v_mov_b32_e32 v19, v105
	s_waitcnt lgkmcnt(0)
	v_mul_lo_u32 v0, s3, v106
	v_mul_lo_u32 v5, s2, v107
	v_mad_u64_u32 v[3:4], s[2:3], s2, v106, 0
	v_lshlrev_b64 v[18:19], 4, v[18:19]
	v_add3_u32 v4, v4, v5, v0
	v_lshlrev_b64 v[3:4], 4, v[3:4]
	v_lshlrev_b64 v[0:1], 4, v[1:2]
	v_add_co_u32_e64 v3, s[2:3], s12, v3
	v_addc_co_u32_e64 v4, s[2:3], v6, v4, s[2:3]
	v_add_co_u32_e64 v20, s[2:3], v3, v0
	v_addc_co_u32_e64 v21, s[2:3], v4, v1, s[2:3]
	v_lshlrev_b64 v[0:1], 4, v[104:105]
	v_add_co_u32_e64 v0, s[2:3], v20, v0
	v_addc_co_u32_e64 v1, s[2:3], v21, v1, s[2:3]
	s_movk_i32 s2, 0x1000
	v_add_co_u32_e64 v2, s[2:3], s2, v0
	v_addc_co_u32_e64 v3, s[2:3], 0, v1, s[2:3]
	s_movk_i32 s2, 0x2000
	;; [unrolled: 3-line block ×3, first 2 shown]
	global_load_dwordx4 v[10:13], v[0:1], off
	global_load_dwordx4 v[14:17], v[0:1], off offset:1664
	global_load_dwordx4 v[58:61], v[0:1], off offset:3328
	;; [unrolled: 1-line block ×5, first 2 shown]
	v_add_co_u32_e64 v2, s[2:3], s2, v0
	v_addc_co_u32_e64 v3, s[2:3], 0, v1, s[2:3]
	s_movk_i32 s2, 0x4000
	v_add_co_u32_e64 v6, s[2:3], s2, v0
	v_addc_co_u32_e64 v7, s[2:3], 0, v1, s[2:3]
	s_movk_i32 s2, 0x5000
	;; [unrolled: 3-line block ×3, first 2 shown]
	v_add_co_u32_e64 v0, s[2:3], s2, v0
	v_addc_co_u32_e64 v1, s[2:3], 0, v1, s[2:3]
	v_add_co_u32_e64 v78, s[2:3], v20, v18
	v_addc_co_u32_e64 v79, s[2:3], v21, v19, s[2:3]
	global_load_dwordx4 v[74:77], v[4:5], off offset:1792
	global_load_dwordx4 v[70:73], v[4:5], off offset:3456
	;; [unrolled: 1-line block ×10, first 2 shown]
	global_load_dwordx4 v[18:21], v[78:79], off
.LBB0_11:
	s_or_b64 exec, exec, s[6:7]
	s_waitcnt vmcnt(0)
	v_add_f64 v[4:5], v[14:15], v[18:19]
	s_mov_b32 s10, 0x2b2883cd
	s_mov_b32 s11, 0x3fdc86fa
	v_add_f64 v[8:9], v[16:17], -v[20:21]
	v_add_f64 v[78:79], v[22:23], v[58:59]
	s_mov_b32 s2, 0x75d4884
	s_mov_b32 s26, 0x7c9e640b
	;; [unrolled: 1-line block ×3, first 2 shown]
	v_mul_f64 v[94:95], v[4:5], s[10:11]
	s_mov_b32 s3, 0x3fe7a5f6
	s_mov_b32 s27, 0xbfeca52d
	;; [unrolled: 1-line block ×3, first 2 shown]
	v_mul_f64 v[80:81], v[4:5], s[2:3]
	v_add_f64 v[84:85], v[60:61], -v[24:25]
	v_mul_f64 v[96:97], v[78:79], s[12:13]
	v_add_f64 v[86:87], v[30:31], v[26:27]
	v_fma_f64 v[2:3], v[8:9], s[26:27], v[94:95]
	s_mov_b32 s24, 0x2a9d6da3
	s_mov_b32 s6, 0x3259b75e
	;; [unrolled: 1-line block ×8, first 2 shown]
	v_mul_f64 v[82:83], v[78:79], s[6:7]
	v_fma_f64 v[0:1], v[8:9], s[24:25], v[80:81]
	v_add_f64 v[2:3], v[2:3], v[10:11]
	v_fma_f64 v[92:93], v[84:85], s[30:31], v[96:97]
	v_add_f64 v[90:91], v[32:33], -v[28:29]
	v_mul_f64 v[110:111], v[86:87], s[16:17]
	s_mov_b32 s22, 0xeb564b22
	s_mov_b32 s36, 0xacd6c6b4
	;; [unrolled: 1-line block ×6, first 2 shown]
	v_add_f64 v[0:1], v[0:1], v[10:11]
	v_fma_f64 v[6:7], v[84:85], s[22:23], v[82:83]
	v_mul_f64 v[88:89], v[86:87], s[12:13]
	v_add_f64 v[2:3], v[92:93], v[2:3]
	v_add_f64 v[92:93], v[46:47], v[38:39]
	v_fma_f64 v[108:109], v[90:91], s[38:39], v[110:111]
	v_add_f64 v[100:101], v[48:49], -v[40:41]
	s_mov_b32 s18, 0x910ea3b9
	s_mov_b32 s19, 0xbfeb34fa
	v_add_f64 v[0:1], v[6:7], v[0:1]
	v_fma_f64 v[6:7], v[90:91], s[30:31], v[88:89]
	v_add_f64 v[114:115], v[52:53], -v[36:37]
	v_mul_f64 v[98:99], v[92:93], s[16:17]
	v_add_f64 v[2:3], v[108:109], v[2:3]
	v_add_f64 v[108:109], v[34:35], v[50:51]
	v_mul_f64 v[142:143], v[4:5], s[6:7]
	s_mov_b32 s20, 0xc61f0d01
	s_mov_b32 s46, 0x4363dd80
	v_add_f64 v[0:1], v[6:7], v[0:1]
	s_mov_b32 s21, 0xbfd183b1
	v_fma_f64 v[6:7], v[100:101], s[36:37], v[98:99]
	s_mov_b32 s47, 0x3fe0d888
	v_mul_f64 v[112:113], v[108:109], s[18:19]
	v_mul_f64 v[116:117], v[92:93], s[20:21]
	v_fma_f64 v[120:121], v[8:9], s[22:23], v[142:143]
	v_mul_f64 v[144:145], v[78:79], s[16:17]
	s_mov_b32 s34, 0x923c349f
	s_mov_b32 s35, 0x3feec746
	v_add_f64 v[0:1], v[6:7], v[0:1]
	v_mul_f64 v[146:147], v[86:87], s[20:21]
	v_fma_f64 v[6:7], v[114:115], s[46:47], v[112:113]
	v_fma_f64 v[118:119], v[100:101], s[34:35], v[116:117]
	s_mov_b32 s28, 0x370991
	s_mov_b32 s29, 0x3fedd6d0
	v_mul_f64 v[136:137], v[108:109], s[2:3]
	v_mul_f64 v[148:149], v[92:93], s[28:29]
	s_mov_b32 s42, 0x5d8e7cdc
	s_mov_b32 s41, 0x3fe58eea
	v_add_f64 v[0:1], v[6:7], v[0:1]
	v_add_f64 v[6:7], v[120:121], v[10:11]
	v_fma_f64 v[120:121], v[84:85], s[36:37], v[144:145]
	v_add_f64 v[2:3], v[118:119], v[2:3]
	v_add_f64 v[118:119], v[74:75], v[42:43]
	s_mov_b32 s40, s24
	s_mov_b32 s43, 0x3fd71e95
	v_fma_f64 v[124:125], v[114:115], s[40:41], v[136:137]
	v_add_f64 v[126:127], v[76:77], -v[44:45]
	v_fma_f64 v[130:131], v[100:101], s[42:43], v[148:149]
	v_add_f64 v[6:7], v[120:121], v[6:7]
	v_fma_f64 v[120:121], v[90:91], s[34:35], v[146:147]
	v_mul_f64 v[122:123], v[118:119], s[20:21]
	v_mul_f64 v[138:139], v[118:119], s[28:29]
	;; [unrolled: 1-line block ×3, first 2 shown]
	s_mov_b32 s51, 0xbfd71e95
	s_mov_b32 s50, s42
	v_add_f64 v[2:3], v[124:125], v[2:3]
	v_mul_f64 v[152:153], v[118:119], s[18:19]
	v_add_f64 v[6:7], v[120:121], v[6:7]
	v_fma_f64 v[124:125], v[126:127], s[34:35], v[122:123]
	v_fma_f64 v[128:129], v[126:127], s[50:51], v[138:139]
	v_add_f64 v[120:121], v[62:63], v[70:71]
	v_fma_f64 v[132:133], v[114:115], s[26:27], v[150:151]
	s_mov_b32 s45, 0xbfe0d888
	s_mov_b32 s44, s46
	v_fma_f64 v[158:159], v[126:127], s[44:45], v[152:153]
	v_add_f64 v[6:7], v[130:131], v[6:7]
	v_add_f64 v[0:1], v[124:125], v[0:1]
	v_add_f64 v[2:3], v[128:129], v[2:3]
	v_add_f64 v[130:131], v[72:73], -v[64:65]
	v_mul_f64 v[128:129], v[120:121], s[10:11]
	v_mul_f64 v[140:141], v[120:121], s[6:7]
	v_add_f64 v[124:125], v[54:55], v[66:67]
	v_mul_f64 v[156:157], v[120:121], s[12:13]
	v_add_f64 v[6:7], v[132:133], v[6:7]
	s_mov_b32 s49, 0x3feca52d
	s_mov_b32 s48, s26
	;; [unrolled: 1-line block ×4, first 2 shown]
	v_fma_f64 v[160:161], v[130:131], s[48:49], v[128:129]
	v_fma_f64 v[162:163], v[130:131], s[22:23], v[140:141]
	v_add_f64 v[134:135], v[68:69], -v[56:57]
	v_mul_f64 v[132:133], v[124:125], s[28:29]
	v_mul_f64 v[154:155], v[124:125], s[18:19]
	v_add_f64 v[6:7], v[158:159], v[6:7]
	v_fma_f64 v[164:165], v[130:131], s[52:53], v[156:157]
	v_mul_f64 v[158:159], v[124:125], s[2:3]
	v_add_f64 v[0:1], v[160:161], v[0:1]
	v_add_f64 v[160:161], v[162:163], v[2:3]
	v_fma_f64 v[2:3], v[134:135], s[42:43], v[132:133]
	v_fma_f64 v[162:163], v[134:135], s[44:45], v[154:155]
	v_add_f64 v[6:7], v[164:165], v[6:7]
	v_fma_f64 v[164:165], v[134:135], s[40:41], v[158:159]
	v_add_f64 v[2:3], v[2:3], v[0:1]
	v_add_f64 v[0:1], v[162:163], v[160:161]
	;; [unrolled: 1-line block ×3, first 2 shown]
	s_and_saveexec_b64 s[54:55], s[0:1]
	s_cbranch_execz .LBB0_13
; %bb.12:
	v_mul_f64 v[160:161], v[8:9], s[36:37]
	v_mul_f64 v[172:173], v[84:85], s[42:43]
	;; [unrolled: 1-line block ×6, first 2 shown]
	s_mov_b32 s57, 0xbfeec746
	s_mov_b32 s56, s34
	v_fma_f64 v[176:177], v[4:5], s[16:17], v[160:161]
	v_fma_f64 v[188:189], v[78:79], s[28:29], v[172:173]
	v_fma_f64 v[160:161], v[4:5], s[16:17], -v[160:161]
	v_fma_f64 v[198:199], v[86:87], s[18:19], v[186:187]
	v_fma_f64 v[172:173], v[78:79], s[28:29], -v[172:173]
	v_fma_f64 v[206:207], v[92:93], s[2:3], v[196:197]
	v_fma_f64 v[212:213], v[108:109], s[12:13], v[204:205]
	;; [unrolled: 1-line block ×3, first 2 shown]
	v_add_f64 v[176:177], v[176:177], v[10:11]
	s_mov_b32 s59, 0x3fefdd0d
	v_add_f64 v[160:161], v[160:161], v[10:11]
	s_mov_b32 s58, s22
	v_mul_f64 v[224:225], v[8:9], s[44:45]
	v_fma_f64 v[186:187], v[86:87], s[18:19], -v[186:187]
	v_mul_f64 v[226:227], v[84:85], s[48:49]
	v_mul_f64 v[240:241], v[84:85], s[34:35]
	v_add_f64 v[176:177], v[188:189], v[176:177]
	v_fma_f64 v[196:197], v[92:93], s[2:3], -v[196:197]
	v_add_f64 v[160:161], v[172:173], v[160:161]
	v_mul_f64 v[236:237], v[90:91], s[22:23]
	v_fma_f64 v[230:231], v[4:5], s[18:19], v[224:225]
	v_fma_f64 v[224:225], v[4:5], s[18:19], -v[224:225]
	v_fma_f64 v[238:239], v[78:79], s[10:11], v[226:227]
	v_fma_f64 v[226:227], v[78:79], s[10:11], -v[226:227]
	v_add_f64 v[172:173], v[198:199], v[176:177]
	v_mul_f64 v[248:249], v[90:91], s[50:51]
	v_add_f64 v[160:161], v[186:187], v[160:161]
	v_fma_f64 v[250:251], v[78:79], s[20:21], v[240:241]
	v_add_f64 v[230:231], v[230:231], v[10:11]
	v_add_f64 v[224:225], v[224:225], v[10:11]
	v_fma_f64 v[204:205], v[108:109], s[12:13], -v[204:205]
	v_mul_f64 v[244:245], v[100:101], s[52:53]
	v_add_f64 v[172:173], v[206:207], v[172:173]
	v_mul_f64 v[206:207], v[130:131], s[56:57]
	v_add_f64 v[160:161], v[196:197], v[160:161]
	v_fma_f64 v[246:247], v[86:87], s[6:7], v[236:237]
	v_add_f64 v[230:231], v[238:239], v[230:231]
	v_fma_f64 v[236:237], v[86:87], s[6:7], -v[236:237]
	v_add_f64 v[224:225], v[226:227], v[224:225]
	v_mul_f64 v[238:239], v[100:101], s[44:45]
	v_add_f64 v[172:173], v[212:213], v[172:173]
	v_mul_f64 v[212:213], v[134:135], s[58:59]
	v_fma_f64 v[216:217], v[120:121], s[20:21], v[206:207]
	v_fma_f64 v[252:253], v[86:87], s[28:29], v[248:249]
	v_fma_f64 v[210:211], v[118:119], s[10:11], -v[210:211]
	v_add_f64 v[160:161], v[204:205], v[160:161]
	v_fma_f64 v[226:227], v[92:93], s[12:13], v[244:245]
	v_add_f64 v[230:231], v[246:247], v[230:231]
	v_add_f64 v[172:173], v[214:215], v[172:173]
	v_fma_f64 v[222:223], v[124:125], s[6:7], v[212:213]
	v_fma_f64 v[244:245], v[92:93], s[12:13], -v[244:245]
	v_add_f64 v[224:225], v[236:237], v[224:225]
	v_fma_f64 v[236:237], v[78:79], s[20:21], -v[240:241]
	v_mul_f64 v[240:241], v[114:115], s[58:59]
	v_fma_f64 v[246:247], v[92:93], s[18:19], v[238:239]
	v_add_f64 v[160:161], v[210:211], v[160:161]
	v_add_f64 v[172:173], v[216:217], v[172:173]
	v_mul_f64 v[216:217], v[114:115], s[50:51]
	v_mul_f64 v[210:211], v[126:127], s[36:37]
	v_add_f64 v[226:227], v[226:227], v[230:231]
	v_add_f64 v[224:225], v[244:245], v[224:225]
	v_fma_f64 v[230:231], v[86:87], s[28:29], -v[248:249]
	v_fma_f64 v[244:245], v[108:109], s[6:7], v[240:241]
	v_mul_f64 v[220:221], v[130:131], s[40:41]
	v_add_f64 v[172:173], v[222:223], v[172:173]
	v_mul_f64 v[222:223], v[8:9], s[30:31]
	v_fma_f64 v[234:235], v[108:109], s[28:29], v[216:217]
	v_fma_f64 v[216:217], v[108:109], s[28:29], -v[216:217]
	v_fma_f64 v[206:207], v[120:121], s[20:21], -v[206:207]
	v_fma_f64 v[232:233], v[118:119], s[16:17], v[210:211]
	v_fma_f64 v[210:211], v[118:119], s[16:17], -v[210:211]
	v_mul_f64 v[228:229], v[134:135], s[56:57]
	v_fma_f64 v[212:213], v[124:125], s[6:7], -v[212:213]
	v_fma_f64 v[242:243], v[4:5], s[12:13], v[222:223]
	v_fma_f64 v[222:223], v[4:5], s[12:13], -v[222:223]
	v_add_f64 v[226:227], v[234:235], v[226:227]
	v_add_f64 v[216:217], v[216:217], v[224:225]
	v_fma_f64 v[224:225], v[92:93], s[18:19], -v[238:239]
	v_add_f64 v[160:161], v[206:207], v[160:161]
	v_fma_f64 v[206:207], v[120:121], s[2:3], v[220:221]
	v_fma_f64 v[220:221], v[120:121], s[2:3], -v[220:221]
	v_add_f64 v[242:243], v[242:243], v[10:11]
	v_add_f64 v[222:223], v[222:223], v[10:11]
	;; [unrolled: 1-line block ×4, first 2 shown]
	v_fma_f64 v[216:217], v[108:109], s[6:7], -v[240:241]
	v_add_f64 v[160:161], v[212:213], v[160:161]
	v_mul_f64 v[166:167], v[8:9], s[22:23]
	v_add_f64 v[248:249], v[14:15], v[10:11]
	v_add_f64 v[242:243], v[250:251], v[242:243]
	;; [unrolled: 1-line block ×3, first 2 shown]
	v_mul_f64 v[236:237], v[126:127], s[24:25]
	v_add_f64 v[206:207], v[206:207], v[226:227]
	v_fma_f64 v[226:227], v[124:125], s[20:21], -v[228:229]
	v_add_f64 v[210:211], v[220:221], v[210:211]
	v_mul_f64 v[164:165], v[8:9], s[26:27]
	v_mul_f64 v[174:175], v[84:85], s[36:37]
	v_add_f64 v[242:243], v[252:253], v[242:243]
	v_add_f64 v[222:223], v[230:231], v[222:223]
	v_mul_f64 v[230:231], v[130:131], s[36:37]
	v_fma_f64 v[234:235], v[118:119], s[2:3], v[236:237]
	v_mul_f64 v[182:183], v[90:91], s[34:35]
	v_add_f64 v[210:211], v[226:227], v[210:211]
	v_mul_f64 v[226:227], v[84:85], s[46:47]
	v_add_f64 v[142:143], v[142:143], -v[166:167]
	v_add_f64 v[242:243], v[246:247], v[242:243]
	v_add_f64 v[222:223], v[224:225], v[222:223]
	v_mul_f64 v[224:225], v[134:135], s[48:49]
	v_fma_f64 v[232:233], v[120:121], s[16:17], v[230:231]
	v_fma_f64 v[212:213], v[120:121], s[16:17], -v[230:231]
	v_mul_f64 v[170:171], v[84:85], s[30:31]
	v_add_f64 v[144:145], v[144:145], -v[174:175]
	v_add_f64 v[94:95], v[94:95], -v[164:165]
	v_add_f64 v[238:239], v[244:245], v[242:243]
	v_add_f64 v[216:217], v[216:217], v[222:223]
	v_fma_f64 v[220:221], v[124:125], s[10:11], v[224:225]
	v_mul_f64 v[242:243], v[100:101], s[26:27]
	v_add_f64 v[142:143], v[142:143], v[10:11]
	v_add_f64 v[146:147], v[146:147], -v[182:183]
	v_mul_f64 v[180:181], v[90:91], s[38:39]
	v_mul_f64 v[192:193], v[100:101], s[42:43]
	v_add_f64 v[234:235], v[234:235], v[238:239]
	v_fma_f64 v[238:239], v[124:125], s[20:21], v[228:229]
	v_fma_f64 v[228:229], v[118:119], s[2:3], -v[236:237]
	v_fma_f64 v[250:251], v[92:93], s[10:11], v[242:243]
	v_add_f64 v[96:97], v[96:97], -v[170:171]
	v_add_f64 v[94:95], v[94:95], v[10:11]
	v_add_f64 v[142:143], v[144:145], v[142:143]
	v_mul_f64 v[190:191], v[100:101], s[34:35]
	v_add_f64 v[222:223], v[232:233], v[234:235]
	v_mul_f64 v[232:233], v[8:9], s[56:57]
	v_add_f64 v[216:217], v[228:229], v[216:217]
	v_fma_f64 v[234:235], v[78:79], s[18:19], v[226:227]
	v_fma_f64 v[226:227], v[78:79], s[18:19], -v[226:227]
	v_add_f64 v[206:207], v[238:239], v[206:207]
	v_mul_f64 v[238:239], v[126:127], s[58:59]
	v_mul_f64 v[200:201], v[114:115], s[26:27]
	v_add_f64 v[220:221], v[220:221], v[222:223]
	v_fma_f64 v[222:223], v[4:5], s[20:21], v[232:233]
	v_add_f64 v[212:213], v[212:213], v[216:217]
	v_mul_f64 v[216:217], v[90:91], s[40:41]
	v_fma_f64 v[232:233], v[4:5], s[20:21], -v[232:233]
	v_mul_f64 v[198:199], v[126:127], s[44:45]
	v_fma_f64 v[246:247], v[118:119], s[6:7], v[238:239]
	v_add_f64 v[148:149], v[148:149], -v[192:193]
	v_add_f64 v[110:111], v[110:111], -v[180:181]
	v_add_f64 v[222:223], v[222:223], v[10:11]
	v_add_f64 v[94:95], v[96:97], v[94:95]
	v_fma_f64 v[244:245], v[86:87], s[2:3], v[216:217]
	v_add_f64 v[232:233], v[232:233], v[10:11]
	v_fma_f64 v[216:217], v[86:87], s[2:3], -v[216:217]
	v_add_f64 v[96:97], v[146:147], v[142:143]
	v_mul_f64 v[188:189], v[114:115], s[40:41]
	v_add_f64 v[150:151], v[150:151], -v[200:201]
	v_add_f64 v[222:223], v[234:235], v[222:223]
	v_mul_f64 v[234:235], v[114:115], s[36:37]
	v_add_f64 v[116:117], v[116:117], -v[190:191]
	v_add_f64 v[166:167], v[226:227], v[232:233]
	v_fma_f64 v[232:233], v[92:93], s[10:11], -v[242:243]
	v_add_f64 v[242:243], v[58:59], v[248:249]
	v_add_f64 v[94:95], v[110:111], v[94:95]
	;; [unrolled: 1-line block ×4, first 2 shown]
	v_fma_f64 v[226:227], v[108:109], s[16:17], v[234:235]
	v_fma_f64 v[174:175], v[108:109], s[16:17], -v[234:235]
	v_add_f64 v[164:165], v[216:217], v[166:167]
	v_add_f64 v[148:149], v[152:153], -v[198:199]
	v_add_f64 v[182:183], v[30:31], v[242:243]
	v_mul_f64 v[162:163], v[8:9], s[24:25]
	v_mul_f64 v[176:177], v[126:127], s[50:51]
	v_add_f64 v[166:167], v[250:251], v[222:223]
	v_add_f64 v[136:137], v[136:137], -v[188:189]
	v_add_f64 v[94:95], v[116:117], v[94:95]
	v_add_f64 v[144:145], v[232:233], v[164:165]
	;; [unrolled: 1-line block ×4, first 2 shown]
	v_mul_f64 v[8:9], v[8:9], s[50:51]
	v_mul_f64 v[168:169], v[84:85], s[22:23]
	v_add_f64 v[164:165], v[226:227], v[166:167]
	v_add_f64 v[138:139], v[138:139], -v[176:177]
	v_add_f64 v[94:95], v[136:137], v[94:95]
	v_add_f64 v[142:143], v[174:175], v[144:145]
	;; [unrolled: 1-line block ×3, first 2 shown]
	v_mul_f64 v[84:85], v[84:85], s[24:25]
	v_fma_f64 v[148:149], v[4:5], s[28:29], -v[8:9]
	v_add_f64 v[80:81], v[80:81], -v[162:163]
	v_add_f64 v[144:145], v[246:247], v[164:165]
	v_add_f64 v[164:165], v[50:51], v[170:171]
	v_fma_f64 v[4:5], v[4:5], s[28:29], v[8:9]
	v_mul_f64 v[178:179], v[90:91], s[30:31]
	v_add_f64 v[94:95], v[138:139], v[94:95]
	v_mul_f64 v[90:91], v[90:91], s[26:27]
	v_fma_f64 v[8:9], v[78:79], s[2:3], -v[84:85]
	v_add_f64 v[138:139], v[148:149], v[10:11]
	v_add_f64 v[82:83], v[82:83], -v[168:169]
	v_add_f64 v[152:153], v[74:75], v[164:165]
	v_add_f64 v[80:81], v[80:81], v[10:11]
	v_fma_f64 v[78:79], v[78:79], s[2:3], v[84:85]
	v_add_f64 v[4:5], v[4:5], v[10:11]
	v_mul_f64 v[184:185], v[100:101], s[36:37]
	v_mul_f64 v[100:101], v[100:101], s[22:23]
	v_fma_f64 v[10:11], v[86:87], s[10:11], -v[90:91]
	v_add_f64 v[8:9], v[8:9], v[138:139]
	v_add_f64 v[150:151], v[70:71], v[152:153]
	v_add_f64 v[88:89], v[88:89], -v[178:179]
	v_add_f64 v[80:81], v[82:83], v[80:81]
	v_fma_f64 v[86:87], v[86:87], s[10:11], v[90:91]
	v_add_f64 v[4:5], v[78:79], v[4:5]
	v_add_f64 v[82:83], v[98:99], -v[184:185]
	v_mul_f64 v[98:99], v[114:115], s[56:57]
	v_fma_f64 v[78:79], v[92:93], s[6:7], -v[100:101]
	v_add_f64 v[150:151], v[66:67], v[150:151]
	v_add_f64 v[8:9], v[10:11], v[8:9]
	v_mul_f64 v[194:195], v[114:115], s[46:47]
	v_add_f64 v[80:81], v[88:89], v[80:81]
	v_fma_f64 v[90:91], v[92:93], s[6:7], v[100:101]
	v_add_f64 v[4:5], v[86:87], v[4:5]
	v_mul_f64 v[88:89], v[126:127], s[30:31]
	v_fma_f64 v[86:87], v[108:109], s[20:21], -v[98:99]
	v_add_f64 v[148:149], v[54:55], v[150:151]
	v_add_f64 v[8:9], v[78:79], v[8:9]
	v_mul_f64 v[202:203], v[126:127], s[34:35]
	v_add_f64 v[78:79], v[82:83], v[80:81]
	v_mul_f64 v[230:231], v[130:131], s[50:51]
	v_fma_f64 v[166:167], v[118:119], s[6:7], -v[238:239]
	v_fma_f64 v[92:93], v[108:109], s[20:21], v[98:99]
	v_add_f64 v[4:5], v[90:91], v[4:5]
	v_add_f64 v[84:85], v[62:63], v[148:149]
	v_mul_f64 v[82:83], v[130:131], s[44:45]
	v_fma_f64 v[90:91], v[118:119], s[12:13], -v[88:89]
	v_add_f64 v[8:9], v[86:87], v[8:9]
	v_mul_f64 v[208:209], v[130:131], s[48:49]
	v_mul_f64 v[186:187], v[130:131], s[22:23]
	v_add_f64 v[80:81], v[122:123], -v[202:203]
	v_mul_f64 v[196:197], v[130:131], s[52:53]
	v_add_f64 v[10:11], v[42:43], v[84:85]
	v_add_f64 v[84:85], v[112:113], -v[194:195]
	v_fma_f64 v[146:147], v[120:121], s[28:29], -v[230:231]
	v_add_f64 v[110:111], v[166:167], v[142:143]
	v_fma_f64 v[88:89], v[118:119], s[12:13], v[88:89]
	v_add_f64 v[4:5], v[92:93], v[4:5]
	v_mul_f64 v[86:87], v[134:135], s[36:37]
	v_fma_f64 v[92:93], v[120:121], s[18:19], -v[82:83]
	v_add_f64 v[10:11], v[34:35], v[10:11]
	v_add_f64 v[78:79], v[84:85], v[78:79]
	;; [unrolled: 1-line block ×3, first 2 shown]
	v_mul_f64 v[204:205], v[134:135], s[42:43]
	v_mul_f64 v[214:215], v[134:135], s[44:45]
	v_add_f64 v[140:141], v[140:141], -v[186:187]
	v_add_f64 v[84:85], v[128:129], -v[208:209]
	v_mul_f64 v[218:219], v[134:135], s[40:41]
	v_add_f64 v[10:11], v[38:39], v[10:11]
	v_add_f64 v[78:79], v[80:81], v[78:79]
	v_mul_f64 v[228:229], v[134:135], s[30:31]
	v_fma_f64 v[240:241], v[120:121], s[28:29], v[230:231]
	v_add_f64 v[110:111], v[146:147], v[110:111]
	v_add_f64 v[146:147], v[156:157], -v[196:197]
	v_fma_f64 v[82:83], v[120:121], s[18:19], v[82:83]
	v_add_f64 v[4:5], v[88:89], v[4:5]
	v_add_f64 v[10:11], v[26:27], v[10:11]
	v_fma_f64 v[88:89], v[124:125], s[16:17], -v[86:87]
	v_add_f64 v[8:9], v[92:93], v[8:9]
	v_add_f64 v[136:137], v[154:155], -v[214:215]
	v_add_f64 v[80:81], v[140:141], v[94:95]
	v_add_f64 v[90:91], v[132:133], -v[204:205]
	v_add_f64 v[78:79], v[84:85], v[78:79]
	v_add_f64 v[142:143], v[240:241], v[144:145]
	;; [unrolled: 1-line block ×3, first 2 shown]
	v_fma_f64 v[144:145], v[124:125], s[12:13], -v[228:229]
	v_add_f64 v[116:117], v[158:159], -v[218:219]
	v_add_f64 v[84:85], v[146:147], v[96:97]
	v_fma_f64 v[224:225], v[124:125], s[10:11], -v[224:225]
	v_fma_f64 v[236:237], v[124:125], s[12:13], v[228:229]
	v_fma_f64 v[86:87], v[124:125], s[16:17], v[86:87]
	v_add_f64 v[4:5], v[82:83], v[4:5]
	v_add_f64 v[8:9], v[88:89], v[8:9]
	;; [unrolled: 1-line block ×9, first 2 shown]
	s_movk_i32 s33, 0x88
	v_add_f64 v[4:5], v[86:87], v[4:5]
	v_mad_u32_u24 v86, v104, s33, 0
	ds_write2_b64 v86, v[10:11], v[8:9] offset1:1
	ds_write2_b64 v86, v[78:79], v[80:81] offset0:2 offset1:3
	ds_write2_b64 v86, v[82:83], v[92:93] offset0:4 offset1:5
	;; [unrolled: 1-line block ×7, first 2 shown]
	ds_write_b64 v86, v[4:5] offset:128
.LBB0_13:
	s_or_b64 exec, exec, s[54:55]
	v_add_f64 v[148:149], v[14:15], -v[18:19]
	v_add_f64 v[146:147], v[16:17], v[20:21]
	v_add_f64 v[138:139], v[58:59], -v[22:23]
	v_add_f64 v[136:137], v[24:25], v[60:61]
	;; [unrolled: 2-line block ×4, first 2 shown]
	v_mul_f64 v[150:151], v[148:149], s[24:25]
	v_mul_f64 v[152:153], v[148:149], s[26:27]
	;; [unrolled: 1-line block ×8, first 2 shown]
	v_fma_f64 v[4:5], v[146:147], s[2:3], -v[150:151]
	v_fma_f64 v[8:9], v[146:147], s[10:11], -v[152:153]
	;; [unrolled: 1-line block ×3, first 2 shown]
	v_mul_f64 v[142:143], v[128:129], s[34:35]
	v_fma_f64 v[14:15], v[136:137], s[6:7], -v[156:157]
	v_fma_f64 v[18:19], v[136:137], s[12:13], -v[158:159]
	;; [unrolled: 1-line block ×3, first 2 shown]
	v_mul_f64 v[130:131], v[118:119], s[36:37]
	v_add_f64 v[4:5], v[4:5], v[12:13]
	v_add_f64 v[8:9], v[8:9], v[12:13]
	;; [unrolled: 1-line block ×3, first 2 shown]
	v_mul_f64 v[134:135], v[118:119], s[34:35]
	v_mul_f64 v[132:133], v[118:119], s[42:43]
	v_fma_f64 v[26:27], v[126:127], s[12:13], -v[144:145]
	v_fma_f64 v[30:31], v[126:127], s[16:17], -v[140:141]
	;; [unrolled: 1-line block ×3, first 2 shown]
	v_add_f64 v[4:5], v[4:5], v[14:15]
	v_add_f64 v[8:9], v[8:9], v[18:19]
	;; [unrolled: 1-line block ×3, first 2 shown]
	v_add_f64 v[112:113], v[50:51], -v[34:35]
	v_add_f64 v[108:109], v[36:37], v[52:53]
	v_fma_f64 v[14:15], v[116:117], s[16:17], -v[130:131]
	v_fma_f64 v[18:19], v[116:117], s[20:21], -v[134:135]
	;; [unrolled: 1-line block ×3, first 2 shown]
	v_add_f64 v[4:5], v[26:27], v[4:5]
	v_add_f64 v[8:9], v[30:31], v[8:9]
	v_add_f64 v[10:11], v[38:39], v[10:11]
	v_mul_f64 v[120:121], v[112:113], s[46:47]
	v_mul_f64 v[122:123], v[112:113], s[40:41]
	;; [unrolled: 1-line block ×3, first 2 shown]
	v_add_f64 v[58:59], v[74:75], -v[42:43]
	v_add_f64 v[46:47], v[76:77], v[44:45]
	v_add_f64 v[4:5], v[14:15], v[4:5]
	;; [unrolled: 1-line block ×4, first 2 shown]
	v_fma_f64 v[14:15], v[108:109], s[18:19], -v[120:121]
	v_fma_f64 v[18:19], v[108:109], s[2:3], -v[122:123]
	;; [unrolled: 1-line block ×3, first 2 shown]
	v_mul_f64 v[114:115], v[58:59], s[34:35]
	v_mul_f64 v[74:75], v[58:59], s[50:51]
	;; [unrolled: 1-line block ×3, first 2 shown]
	v_add_f64 v[42:43], v[70:71], -v[62:63]
	v_add_f64 v[26:27], v[64:65], v[72:73]
	v_add_f64 v[4:5], v[14:15], v[4:5]
	v_add_f64 v[8:9], v[18:19], v[8:9]
	v_add_f64 v[10:11], v[22:23], v[10:11]
	v_fma_f64 v[14:15], v[46:47], s[20:21], -v[114:115]
	v_fma_f64 v[18:19], v[46:47], s[28:29], -v[74:75]
	;; [unrolled: 1-line block ×3, first 2 shown]
	v_mul_f64 v[50:51], v[42:43], s[48:49]
	v_mul_f64 v[62:63], v[42:43], s[22:23]
	v_mul_f64 v[70:71], v[42:43], s[52:53]
	v_add_f64 v[22:23], v[66:67], -v[54:55]
	v_lshl_add_u32 v105, v104, 3, 0
	v_add_f64 v[4:5], v[14:15], v[4:5]
	v_add_f64 v[8:9], v[18:19], v[8:9]
	;; [unrolled: 1-line block ×3, first 2 shown]
	v_fma_f64 v[14:15], v[26:27], s[10:11], -v[50:51]
	v_fma_f64 v[54:55], v[26:27], s[6:7], -v[62:63]
	v_fma_f64 v[66:67], v[26:27], s[12:13], -v[70:71]
	v_add_f64 v[18:19], v[56:57], v[68:69]
	v_mul_f64 v[38:39], v[22:23], s[42:43]
	v_mul_f64 v[34:35], v[22:23], s[44:45]
	v_mul_f64 v[30:31], v[22:23], s[40:41]
	v_add_u32_e32 v162, 0x2800, v105
	v_add_f64 v[4:5], v[14:15], v[4:5]
	v_add_f64 v[8:9], v[54:55], v[8:9]
	v_add_f64 v[14:15], v[66:67], v[10:11]
	s_waitcnt lgkmcnt(0)
	v_fma_f64 v[10:11], v[18:19], s[28:29], -v[38:39]
	v_fma_f64 v[54:55], v[18:19], s[18:19], -v[34:35]
	;; [unrolled: 1-line block ×3, first 2 shown]
	s_barrier
	ds_read2_b64 v[78:81], v105 offset1:136
	v_add_f64 v[10:11], v[10:11], v[4:5]
	v_add_f64 v[8:9], v[54:55], v[8:9]
	;; [unrolled: 1-line block ×3, first 2 shown]
	v_add_u32_e32 v54, 0x800, v105
	v_add_u32_e32 v55, 0x1000, v105
	;; [unrolled: 1-line block ×4, first 2 shown]
	ds_read2_b64 v[98:101], v54 offset0:16 offset1:152
	ds_read2_b64 v[94:97], v55 offset0:32 offset1:168
	;; [unrolled: 1-line block ×5, first 2 shown]
	ds_read_b64 v[4:5], v105 offset:13056
	s_waitcnt lgkmcnt(0)
	s_barrier
	s_and_saveexec_b64 s[22:23], s[0:1]
	s_cbranch_execz .LBB0_15
; %bb.14:
	v_add_f64 v[16:17], v[16:17], v[12:13]
	v_mul_f64 v[165:166], v[146:147], s[10:11]
	v_mul_f64 v[175:176], v[126:127], s[16:17]
	;; [unrolled: 1-line block ×5, first 2 shown]
	s_mov_b32 s10, 0x6c9a05f6
	s_mov_b32 s11, 0xbfe9895b
	v_add_f64 v[16:17], v[60:61], v[16:17]
	v_mul_f64 v[60:61], v[136:137], s[16:17]
	s_mov_b32 s16, 0x5d8e7cdc
	s_mov_b32 s17, 0xbfd71e95
	v_mul_f64 v[163:164], v[146:147], s[2:3]
	v_mul_f64 v[167:168], v[146:147], s[6:7]
	v_mul_f64 v[169:170], v[136:137], s[6:7]
	v_mul_f64 v[171:172], v[136:137], s[12:13]
	v_add_f64 v[16:17], v[32:33], v[16:17]
	v_mul_f64 v[173:174], v[126:127], s[12:13]
	v_mul_f64 v[177:178], v[126:127], s[20:21]
	;; [unrolled: 1-line block ×7, first 2 shown]
	v_add_f64 v[199:200], v[48:49], v[16:17]
	v_mul_f64 v[16:17], v[18:19], s[2:3]
	s_mov_b32 s12, 0x370991
	s_mov_b32 s6, 0x923c349f
	;; [unrolled: 1-line block ×6, first 2 shown]
	v_add_f64 v[52:53], v[52:53], v[199:200]
	s_mov_b32 s13, 0x3fedd6d0
	s_mov_b32 s7, 0xbfeec746
	;; [unrolled: 1-line block ×7, first 2 shown]
	v_add_f64 v[52:53], v[76:77], v[52:53]
	v_mul_f64 v[76:77], v[148:149], s[10:11]
	s_mov_b32 s38, s6
	v_mul_f64 v[199:200], v[148:149], s[30:31]
	v_mul_f64 v[209:210], v[138:139], s[38:39]
	v_add_f64 v[60:61], v[60:61], v[160:161]
	v_mul_f64 v[183:184], v[116:117], s[28:29]
	v_mul_f64 v[185:186], v[108:109], s[18:19]
	v_add_f64 v[52:53], v[72:73], v[52:53]
	v_mul_f64 v[72:73], v[148:149], s[6:7]
	v_fma_f64 v[160:161], v[146:147], s[2:3], v[76:77]
	v_fma_f64 v[76:77], v[146:147], s[2:3], -v[76:77]
	v_mul_f64 v[193:194], v[46:47], s[28:29]
	v_mul_f64 v[195:196], v[46:47], s[18:19]
	;; [unrolled: 1-line block ×4, first 2 shown]
	v_add_f64 v[52:53], v[68:69], v[52:53]
	v_mul_f64 v[68:69], v[148:149], s[16:17]
	s_mov_b32 s0, 0xc61f0d01
	s_mov_b32 s28, 0x910ea3b9
	s_mov_b32 s18, 0x7faef3
	s_mov_b32 s26, 0x75d4884
	s_mov_b32 s35, 0x3fe0d888
	s_mov_b32 s24, 0x7c9e640b
	v_add_f64 v[52:53], v[56:57], v[52:53]
	v_mul_f64 v[56:57], v[148:149], s[20:21]
	v_mul_f64 v[148:149], v[138:139], s[36:37]
	s_mov_b32 s34, s30
	s_mov_b32 s1, 0xbfd183b1
	;; [unrolled: 1-line block ×5, first 2 shown]
	v_add_f64 v[52:53], v[64:65], v[52:53]
	v_add_f64 v[64:65], v[163:164], v[150:151]
	;; [unrolled: 1-line block ×6, first 2 shown]
	v_fma_f64 v[158:159], v[146:147], s[12:13], v[68:69]
	s_mov_b32 s25, 0x3feca52d
	v_add_f64 v[44:45], v[44:45], v[52:53]
	v_fma_f64 v[52:53], v[146:147], s[12:13], -v[68:69]
	v_mul_f64 v[207:208], v[138:139], s[34:35]
	s_mov_b32 s35, 0x3fd71e95
	s_mov_b32 s34, s16
	;; [unrolled: 1-line block ×4, first 2 shown]
	v_mul_f64 v[205:206], v[138:139], s[24:25]
	v_add_f64 v[36:37], v[36:37], v[44:45]
	v_fma_f64 v[68:69], v[146:147], s[0:1], v[72:73]
	v_fma_f64 v[72:73], v[146:147], s[0:1], -v[72:73]
	v_fma_f64 v[163:164], v[146:147], s[28:29], v[199:200]
	v_fma_f64 v[165:166], v[146:147], s[28:29], -v[199:200]
	;; [unrolled: 2-line block ×3, first 2 shown]
	v_fma_f64 v[146:147], v[136:137], s[26:27], v[148:149]
	v_add_f64 v[36:37], v[40:41], v[36:37]
	v_fma_f64 v[148:149], v[136:137], s[26:27], -v[148:149]
	v_fma_f64 v[40:41], v[136:137], s[0:1], -v[209:210]
	v_add_f64 v[64:65], v[64:65], v[12:13]
	v_add_f64 v[150:151], v[150:151], v[12:13]
	;; [unrolled: 1-line block ×6, first 2 shown]
	v_fma_f64 v[167:168], v[136:137], s[28:29], v[207:208]
	v_fma_f64 v[169:170], v[136:137], s[28:29], -v[207:208]
	v_fma_f64 v[171:172], v[136:137], s[0:1], v[209:210]
	v_add_f64 v[152:153], v[152:153], v[12:13]
	v_add_f64 v[68:69], v[68:69], v[12:13]
	v_add_f64 v[36:37], v[72:73], v[12:13]
	v_add_f64 v[72:73], v[160:161], v[12:13]
	v_add_f64 v[24:25], v[24:25], v[28:29]
	v_add_f64 v[160:161], v[163:164], v[12:13]
	v_add_f64 v[163:164], v[165:166], v[12:13]
	v_add_f64 v[44:45], v[44:45], v[12:13]
	v_add_f64 v[12:13], v[56:57], v[12:13]
	v_add_f64 v[28:29], v[64:65], v[154:155]
	v_add_f64 v[56:57], v[150:151], v[156:157]
	v_add_f64 v[64:65], v[158:159], v[146:147]
	v_add_f64 v[20:21], v[20:21], v[24:25]
	v_mul_f64 v[24:25], v[138:139], s[34:35]
	v_mul_f64 v[138:139], v[128:129], s[44:45]
	s_mov_b32 s34, 0x2b2883cd
	s_mov_b32 s35, 0x3fdc86fa
	v_add_f64 v[52:53], v[52:53], v[148:149]
	v_fma_f64 v[146:147], v[136:137], s[34:35], v[205:206]
	v_fma_f64 v[148:149], v[136:137], s[34:35], -v[205:206]
	v_add_f64 v[40:41], v[76:77], v[40:41]
	v_fma_f64 v[150:151], v[136:137], s[12:13], v[24:25]
	v_fma_f64 v[24:25], v[136:137], s[12:13], -v[24:25]
	v_fma_f64 v[136:137], v[126:127], s[34:35], v[138:139]
	v_fma_f64 v[76:77], v[126:127], s[34:35], -v[138:139]
	s_mov_b32 s43, 0x3fe58eea
	s_mov_b32 s42, s36
	v_add_f64 v[60:61], v[152:153], v[60:61]
	s_mov_b32 s41, 0xbfefdd0d
	s_mov_b32 s40, 0xeb564b22
	v_add_f64 v[12:13], v[12:13], v[24:25]
	v_add_f64 v[24:25], v[173:174], v[144:145]
	;; [unrolled: 1-line block ×6, first 2 shown]
	v_mul_f64 v[140:141], v[128:129], s[42:43]
	v_add_f64 v[68:69], v[68:69], v[167:168]
	s_mov_b32 s38, 0x3259b75e
	v_add_f64 v[24:25], v[24:25], v[28:29]
	v_mul_f64 v[28:29], v[128:129], s[16:17]
	v_add_f64 v[56:57], v[136:137], v[56:57]
	v_mul_f64 v[136:137], v[128:129], s[40:41]
	v_add_f64 v[60:61], v[76:77], v[60:61]
	v_fma_f64 v[76:77], v[126:127], s[26:27], v[140:141]
	s_mov_b32 s39, 0x3fb79ee6
	v_add_f64 v[138:139], v[160:161], v[146:147]
	v_mul_f64 v[128:129], v[128:129], s[30:31]
	v_fma_f64 v[142:143], v[126:127], s[12:13], v[28:29]
	v_fma_f64 v[28:29], v[126:127], s[12:13], -v[28:29]
	v_fma_f64 v[144:145], v[126:127], s[38:39], v[136:137]
	v_add_f64 v[36:37], v[36:37], v[169:170]
	v_add_f64 v[68:69], v[76:77], v[68:69]
	v_mul_f64 v[76:77], v[118:119], s[40:41]
	v_fma_f64 v[140:141], v[126:127], s[26:27], -v[140:141]
	v_fma_f64 v[136:137], v[126:127], s[38:39], -v[136:137]
	v_add_f64 v[130:131], v[179:180], v[130:131]
	v_add_f64 v[28:29], v[28:29], v[40:41]
	;; [unrolled: 1-line block ×3, first 2 shown]
	v_fma_f64 v[138:139], v[126:127], s[28:29], v[128:129]
	v_fma_f64 v[126:127], v[126:127], s[28:29], -v[128:129]
	v_fma_f64 v[128:129], v[116:117], s[38:39], v[76:77]
	v_fma_f64 v[76:77], v[116:117], s[38:39], -v[76:77]
	v_add_f64 v[36:37], v[140:141], v[36:37]
	v_mul_f64 v[140:141], v[118:119], s[44:45]
	s_mov_b32 s45, 0x3fe9895b
	s_mov_b32 s44, s10
	v_add_f64 v[44:45], v[44:45], v[150:151]
	v_add_f64 v[24:25], v[130:131], v[24:25]
	v_add_f64 v[64:65], v[128:129], v[64:65]
	v_add_f64 v[52:53], v[76:77], v[52:53]
	v_add_f64 v[76:77], v[183:184], v[132:133]
	v_mul_f64 v[128:129], v[118:119], s[30:31]
	v_mul_f64 v[130:131], v[118:119], s[44:45]
	;; [unrolled: 1-line block ×3, first 2 shown]
	v_add_f64 v[134:135], v[181:182], v[134:135]
	v_add_f64 v[44:45], v[138:139], v[44:45]
	v_add_f64 v[12:13], v[126:127], v[12:13]
	v_fma_f64 v[126:127], v[116:117], s[34:35], v[140:141]
	v_add_f64 v[60:61], v[76:77], v[60:61]
	v_fma_f64 v[76:77], v[116:117], s[34:35], -v[140:141]
	v_mul_f64 v[132:133], v[112:113], s[6:7]
	v_add_f64 v[72:73], v[72:73], v[171:172]
	v_add_f64 v[56:57], v[134:135], v[56:57]
	v_fma_f64 v[134:135], v[116:117], s[2:3], v[130:131]
	v_fma_f64 v[130:131], v[116:117], s[2:3], -v[130:131]
	v_add_f64 v[68:69], v[126:127], v[68:69]
	v_fma_f64 v[126:127], v[116:117], s[28:29], v[128:129]
	v_add_f64 v[36:37], v[76:77], v[36:37]
	v_fma_f64 v[76:77], v[116:117], s[26:27], v[118:119]
	v_fma_f64 v[128:129], v[116:117], s[28:29], -v[128:129]
	v_fma_f64 v[116:117], v[116:117], s[26:27], -v[118:119]
	v_add_f64 v[146:147], v[163:164], v[148:149]
	v_fma_f64 v[118:119], v[108:109], s[0:1], v[132:133]
	s_mov_b32 s41, 0x3fefdd0d
	v_add_f64 v[72:73], v[142:143], v[72:73]
	v_add_f64 v[114:115], v[191:192], v[114:115]
	;; [unrolled: 1-line block ×3, first 2 shown]
	v_mul_f64 v[76:77], v[112:113], s[20:21]
	v_add_f64 v[12:13], v[116:117], v[12:13]
	v_add_f64 v[116:117], v[185:186], v[120:121]
	;; [unrolled: 1-line block ×5, first 2 shown]
	v_fma_f64 v[128:129], v[108:109], s[0:1], -v[132:133]
	v_add_f64 v[64:65], v[118:119], v[64:65]
	v_fma_f64 v[124:125], v[108:109], s[18:19], v[76:77]
	v_add_f64 v[118:119], v[187:188], v[122:123]
	v_mul_f64 v[122:123], v[112:113], s[40:41]
	v_add_f64 v[24:25], v[116:117], v[24:25]
	v_mul_f64 v[116:117], v[112:113], s[16:17]
	v_mul_f64 v[112:113], v[112:113], s[10:11]
	v_fma_f64 v[76:77], v[108:109], s[18:19], -v[76:77]
	v_add_f64 v[72:73], v[126:127], v[72:73]
	v_add_f64 v[68:69], v[124:125], v[68:69]
	v_mul_f64 v[124:125], v[58:59], s[10:11]
	v_add_f64 v[126:127], v[130:131], v[136:137]
	v_add_f64 v[52:53], v[128:129], v[52:53]
	;; [unrolled: 1-line block ×4, first 2 shown]
	v_fma_f64 v[118:119], v[108:109], s[38:39], v[122:123]
	v_fma_f64 v[120:121], v[108:109], s[38:39], -v[122:123]
	v_fma_f64 v[122:123], v[108:109], s[12:13], v[116:117]
	v_fma_f64 v[116:117], v[108:109], s[12:13], -v[116:117]
	v_fma_f64 v[128:129], v[108:109], s[2:3], v[112:113]
	v_add_f64 v[36:37], v[76:77], v[36:37]
	v_fma_f64 v[76:77], v[108:109], s[2:3], -v[112:113]
	v_fma_f64 v[112:113], v[46:47], s[2:3], v[124:125]
	v_add_f64 v[74:75], v[193:194], v[74:75]
	v_add_f64 v[110:111], v[195:196], v[110:111]
	;; [unrolled: 1-line block ×4, first 2 shown]
	v_fma_f64 v[116:117], v[46:47], s[2:3], -v[124:125]
	v_add_f64 v[24:25], v[114:115], v[24:25]
	v_add_f64 v[12:13], v[76:77], v[12:13]
	v_mul_f64 v[76:77], v[58:59], s[40:41]
	v_add_f64 v[64:65], v[112:113], v[64:65]
	v_mul_f64 v[112:113], v[58:59], s[36:37]
	v_mul_f64 v[114:115], v[58:59], s[20:21]
	v_add_f64 v[56:57], v[74:75], v[56:57]
	v_add_f64 v[52:53], v[116:117], v[52:53]
	;; [unrolled: 1-line block ×3, first 2 shown]
	v_mul_f64 v[58:59], v[58:59], s[24:25]
	v_fma_f64 v[116:117], v[46:47], s[38:39], v[76:77]
	v_fma_f64 v[74:75], v[46:47], s[38:39], -v[76:77]
	v_fma_f64 v[110:111], v[46:47], s[26:27], -v[112:113]
	v_add_f64 v[72:73], v[118:119], v[72:73]
	v_fma_f64 v[76:77], v[46:47], s[26:27], v[112:113]
	v_fma_f64 v[112:113], v[46:47], s[18:19], v[114:115]
	v_fma_f64 v[114:115], v[46:47], s[18:19], -v[114:115]
	v_add_f64 v[50:51], v[197:198], v[50:51]
	v_add_f64 v[68:69], v[116:117], v[68:69]
	v_mul_f64 v[116:117], v[42:43], s[30:31]
	v_add_f64 v[36:37], v[74:75], v[36:37]
	v_add_f64 v[28:29], v[110:111], v[28:29]
	v_fma_f64 v[74:75], v[46:47], s[34:35], v[58:59]
	v_fma_f64 v[46:47], v[46:47], s[34:35], -v[58:59]
	v_mul_f64 v[110:111], v[42:43], s[16:17]
	v_add_f64 v[62:63], v[201:202], v[62:63]
	v_add_f64 v[40:41], v[134:135], v[40:41]
	;; [unrolled: 1-line block ×4, first 2 shown]
	v_fma_f64 v[76:77], v[26:27], s[28:29], v[116:117]
	v_add_f64 v[24:25], v[50:51], v[24:25]
	v_add_f64 v[12:13], v[46:47], v[12:13]
	;; [unrolled: 1-line block ×3, first 2 shown]
	v_fma_f64 v[70:71], v[26:27], s[12:13], v[110:111]
	v_mul_f64 v[50:51], v[42:43], s[20:21]
	v_add_f64 v[56:57], v[62:63], v[56:57]
	v_mul_f64 v[62:63], v[42:43], s[42:43]
	v_add_f64 v[40:41], v[122:123], v[40:41]
	v_add_f64 v[58:59], v[114:115], v[108:109]
	v_fma_f64 v[108:109], v[26:27], s[28:29], -v[116:117]
	v_add_f64 v[44:45], v[74:75], v[44:45]
	v_add_f64 v[64:65], v[76:77], v[64:65]
	v_mul_f64 v[42:43], v[42:43], s[6:7]
	v_add_f64 v[68:69], v[70:71], v[68:69]
	v_mul_f64 v[70:71], v[22:23], s[20:21]
	v_fma_f64 v[74:75], v[26:27], s[18:19], v[50:51]
	v_fma_f64 v[50:51], v[26:27], s[18:19], -v[50:51]
	v_fma_f64 v[76:77], v[26:27], s[26:27], v[62:63]
	v_fma_f64 v[62:63], v[26:27], s[26:27], -v[62:63]
	v_add_f64 v[38:39], v[48:49], v[38:39]
	v_add_f64 v[16:17], v[16:17], v[30:31]
	v_mul_f64 v[30:31], v[22:23], s[10:11]
	v_add_f64 v[40:41], v[112:113], v[40:41]
	v_add_f64 v[52:53], v[108:109], v[52:53]
	;; [unrolled: 1-line block ×3, first 2 shown]
	v_fma_f64 v[60:61], v[26:27], s[12:13], -v[110:111]
	v_fma_f64 v[108:109], v[26:27], s[0:1], v[42:43]
	v_fma_f64 v[26:27], v[26:27], s[0:1], -v[42:43]
	v_fma_f64 v[42:43], v[18:19], s[18:19], v[70:71]
	v_add_f64 v[28:29], v[50:51], v[28:29]
	v_add_f64 v[50:51], v[62:63], v[58:59]
	v_fma_f64 v[58:59], v[18:19], s[18:19], -v[70:71]
	v_add_f64 v[32:33], v[32:33], v[34:35]
	v_mul_f64 v[34:35], v[22:23], s[24:25]
	v_mul_f64 v[48:49], v[22:23], s[6:7]
	;; [unrolled: 1-line block ×3, first 2 shown]
	v_add_f64 v[24:25], v[38:39], v[24:25]
	v_fma_f64 v[38:39], v[18:19], s[2:3], v[30:31]
	v_add_f64 v[36:37], v[60:61], v[36:37]
	v_add_f64 v[60:61], v[74:75], v[72:73]
	;; [unrolled: 1-line block ×7, first 2 shown]
	v_fma_f64 v[46:47], v[18:19], s[34:35], v[34:35]
	v_fma_f64 v[34:35], v[18:19], s[34:35], -v[34:35]
	v_fma_f64 v[52:53], v[18:19], s[0:1], v[48:49]
	v_add_f64 v[44:45], v[108:109], v[44:45]
	v_add_f64 v[32:33], v[32:33], v[56:57]
	v_fma_f64 v[56:57], v[18:19], s[38:39], v[22:23]
	v_fma_f64 v[22:23], v[18:19], s[38:39], -v[22:23]
	v_fma_f64 v[48:49], v[18:19], s[0:1], -v[48:49]
	;; [unrolled: 1-line block ×3, first 2 shown]
	v_add_f64 v[30:31], v[38:39], v[68:69]
	v_add_f64 v[38:39], v[46:47], v[60:61]
	;; [unrolled: 1-line block ×8, first 2 shown]
	v_lshl_add_u32 v36, v104, 7, v105
	ds_write2_b64 v36, v[20:21], v[26:27] offset1:1
	ds_write2_b64 v36, v[24:25], v[32:33] offset0:2 offset1:3
	ds_write2_b64 v36, v[16:17], v[30:31] offset0:4 offset1:5
	;; [unrolled: 1-line block ×7, first 2 shown]
	ds_write_b64 v36, v[42:43] offset:128
.LBB0_15:
	s_or_b64 exec, exec, s[22:23]
	s_movk_i32 s0, 0xf1
	v_mul_lo_u16_sdwa v12, v104, s0 dst_sel:DWORD dst_unused:UNUSED_PAD src0_sel:BYTE_0 src1_sel:DWORD
	v_lshrrev_b16_e32 v24, 12, v12
	v_mul_lo_u16_e32 v12, 17, v24
	v_sub_u16_e32 v25, v104, v12
	v_mov_b32_e32 v12, 12
	v_mul_u32_u24_sdwa v12, v25, v12 dst_sel:DWORD dst_unused:UNUSED_PAD src0_sel:BYTE_0 src1_sel:DWORD
	v_lshlrev_b32_e32 v12, 4, v12
	s_load_dwordx2 s[2:3], s[4:5], 0x0
	s_waitcnt lgkmcnt(0)
	s_barrier
	global_load_dwordx4 v[16:19], v12, s[8:9]
	global_load_dwordx4 v[20:23], v12, s[8:9] offset:16
	global_load_dwordx4 v[26:29], v12, s[8:9] offset:32
	;; [unrolled: 1-line block ×11, first 2 shown]
	ds_read2_b64 v[40:43], v105 offset1:136
	ds_read2_b64 v[50:53], v54 offset0:16 offset1:152
	ds_read2_b64 v[128:131], v55 offset0:32 offset1:168
	;; [unrolled: 1-line block ×5, first 2 shown]
	ds_read_b64 v[38:39], v105 offset:13056
	s_mov_b32 s38, 0x4267c47c
	s_mov_b32 s22, 0x42a4c3d2
	;; [unrolled: 1-line block ×36, first 2 shown]
	v_mul_u32_u24_e32 v24, 0x6e8, v24
	s_waitcnt vmcnt(0) lgkmcnt(0)
	s_barrier
	s_movk_i32 s0, 0x55
	v_cmp_gt_u32_e64 s[0:1], s0, v104
	v_mul_f64 v[12:13], v[42:43], v[18:19]
	v_mul_f64 v[18:19], v[80:81], v[18:19]
	;; [unrolled: 1-line block ×8, first 2 shown]
	v_fma_f64 v[108:109], v[80:81], v[16:17], -v[12:13]
	v_fma_f64 v[110:111], v[42:43], v[16:17], v[18:19]
	v_fma_f64 v[80:81], v[98:99], v[20:21], -v[44:45]
	v_mul_f64 v[156:157], v[38:39], v[126:127]
	v_mul_f64 v[148:149], v[86:87], v[70:71]
	;; [unrolled: 1-line block ×3, first 2 shown]
	v_fma_f64 v[74:75], v[100:101], v[26:27], -v[54:55]
	v_fma_f64 v[54:55], v[86:87], v[68:69], -v[146:147]
	v_add_f64 v[16:17], v[78:79], v[108:109]
	v_mul_f64 v[66:67], v[132:133], v[48:49]
	v_mul_f64 v[154:155], v[142:143], v[122:123]
	v_fma_f64 v[86:87], v[4:5], v[124:125], -v[156:157]
	v_mul_f64 v[122:123], v[84:85], v[122:123]
	v_fma_f64 v[72:73], v[50:51], v[20:21], v[22:23]
	v_fma_f64 v[58:59], v[94:95], v[30:31], -v[56:57]
	v_fma_f64 v[50:51], v[96:97], v[34:35], -v[64:65]
	v_add_f64 v[4:5], v[16:17], v[80:81]
	v_fma_f64 v[64:65], v[38:39], v[124:125], v[126:127]
	v_mul_f64 v[28:29], v[100:101], v[28:29]
	v_mul_f64 v[32:33], v[94:95], v[32:33]
	;; [unrolled: 1-line block ×5, first 2 shown]
	v_fma_f64 v[44:45], v[90:91], v[46:47], -v[66:67]
	v_add_f64 v[4:5], v[4:5], v[74:75]
	v_fma_f64 v[66:67], v[142:143], v[120:121], v[122:123]
	v_add_f64 v[16:17], v[110:111], -v[64:65]
	v_mul_f64 v[76:77], v[90:91], v[48:49]
	v_mul_f64 v[144:145], v[134:135], v[62:63]
	;; [unrolled: 1-line block ×5, first 2 shown]
	v_add_f64 v[4:5], v[4:5], v[58:59]
	v_fma_f64 v[70:71], v[52:53], v[26:27], v[28:29]
	v_fma_f64 v[56:57], v[128:129], v[30:31], v[32:33]
	;; [unrolled: 1-line block ×4, first 2 shown]
	v_fma_f64 v[84:85], v[84:85], v[120:121], -v[154:155]
	v_fma_f64 v[68:69], v[140:141], v[116:117], v[118:119]
	v_add_f64 v[18:19], v[108:109], v[86:87]
	v_add_f64 v[22:23], v[72:73], -v[66:67]
	v_mul_f64 v[30:31], v[16:17], s[38:39]
	v_mul_f64 v[32:33], v[16:17], s[22:23]
	;; [unrolled: 1-line block ×6, first 2 shown]
	v_add_f64 v[4:5], v[4:5], v[50:51]
	v_fma_f64 v[12:13], v[132:133], v[46:47], v[76:77]
	v_fma_f64 v[46:47], v[92:93], v[60:61], -v[144:145]
	v_fma_f64 v[42:43], v[134:135], v[60:61], v[62:63]
	v_fma_f64 v[60:61], v[88:89], v[112:113], -v[150:151]
	v_fma_f64 v[76:77], v[82:83], v[116:117], -v[152:153]
	v_fma_f64 v[62:63], v[138:139], v[112:113], v[114:115]
	v_add_f64 v[20:21], v[80:81], v[84:85]
	v_add_f64 v[28:29], v[70:71], -v[68:69]
	v_mul_f64 v[82:83], v[22:23], s[22:23]
	v_mul_f64 v[88:89], v[22:23], s[16:17]
	;; [unrolled: 1-line block ×6, first 2 shown]
	v_fma_f64 v[112:113], v[18:19], s[6:7], -v[30:31]
	v_fma_f64 v[30:31], v[18:19], s[6:7], v[30:31]
	v_fma_f64 v[114:115], v[18:19], s[4:5], -v[32:33]
	v_add_f64 v[4:5], v[4:5], v[44:45]
	v_fma_f64 v[120:121], v[18:19], s[18:19], -v[38:39]
	v_fma_f64 v[38:39], v[18:19], s[18:19], v[38:39]
	v_fma_f64 v[122:123], v[18:19], s[24:25], -v[16:17]
	v_fma_f64 v[16:17], v[18:19], s[24:25], v[16:17]
	v_add_f64 v[26:27], v[74:75], v[76:77]
	v_mul_f64 v[96:97], v[28:29], s[34:35]
	v_mul_f64 v[98:99], v[28:29], s[26:27]
	v_fma_f64 v[32:33], v[18:19], s[4:5], v[32:33]
	v_fma_f64 v[116:117], v[18:19], s[10:11], -v[34:35]
	v_fma_f64 v[34:35], v[18:19], s[10:11], v[34:35]
	v_fma_f64 v[118:119], v[18:19], s[12:13], -v[36:37]
	;; [unrolled: 2-line block ×3, first 2 shown]
	v_add_f64 v[4:5], v[4:5], v[46:47]
	v_fma_f64 v[82:83], v[20:21], s[4:5], v[82:83]
	v_fma_f64 v[124:125], v[20:21], s[12:13], -v[88:89]
	v_fma_f64 v[88:89], v[20:21], s[12:13], v[88:89]
	v_fma_f64 v[126:127], v[20:21], s[24:25], -v[90:91]
	v_fma_f64 v[90:91], v[20:21], s[24:25], v[90:91]
	v_fma_f64 v[128:129], v[20:21], s[18:19], -v[92:93]
	v_fma_f64 v[92:93], v[20:21], s[18:19], v[92:93]
	v_fma_f64 v[130:131], v[20:21], s[10:11], -v[94:95]
	v_fma_f64 v[94:95], v[20:21], s[10:11], v[94:95]
	v_fma_f64 v[132:133], v[20:21], s[6:7], -v[22:23]
	v_fma_f64 v[20:21], v[20:21], s[6:7], v[22:23]
	v_add_f64 v[112:113], v[78:79], v[112:113]
	v_add_f64 v[30:31], v[78:79], v[30:31]
	;; [unrolled: 1-line block ×5, first 2 shown]
	v_mul_f64 v[100:101], v[28:29], s[42:43]
	v_add_f64 v[4:5], v[4:5], v[54:55]
	v_fma_f64 v[22:23], v[26:27], s[10:11], -v[96:97]
	v_fma_f64 v[96:97], v[26:27], s[10:11], v[96:97]
	v_add_f64 v[32:33], v[78:79], v[32:33]
	v_add_f64 v[116:117], v[78:79], v[116:117]
	;; [unrolled: 1-line block ×12, first 2 shown]
	v_mul_f64 v[20:21], v[28:29], s[30:31]
	v_fma_f64 v[94:95], v[26:27], s[24:25], -v[98:99]
	v_add_f64 v[4:5], v[4:5], v[60:61]
	v_add_f64 v[32:33], v[88:89], v[32:33]
	v_add_f64 v[82:83], v[126:127], v[116:117]
	v_add_f64 v[34:35], v[90:91], v[34:35]
	v_add_f64 v[36:37], v[92:93], v[36:37]
	v_fma_f64 v[98:99], v[26:27], s[24:25], v[98:99]
	v_add_f64 v[18:19], v[22:23], v[18:19]
	v_add_f64 v[22:23], v[96:97], v[30:31]
	v_fma_f64 v[30:31], v[26:27], s[12:13], -v[100:101]
	v_fma_f64 v[96:97], v[26:27], s[12:13], v[100:101]
	v_mul_f64 v[100:101], v[28:29], s[22:23]
	v_fma_f64 v[112:113], v[26:27], s[6:7], -v[20:21]
	v_add_f64 v[78:79], v[94:95], v[78:79]
	v_add_f64 v[94:95], v[56:57], -v[62:63]
	v_fma_f64 v[20:21], v[26:27], s[6:7], v[20:21]
	v_add_f64 v[88:89], v[128:129], v[118:119]
	v_mul_f64 v[28:29], v[28:29], s[20:21]
	v_add_f64 v[4:5], v[4:5], v[76:77]
	v_add_f64 v[90:91], v[130:131], v[120:121]
	;; [unrolled: 1-line block ×5, first 2 shown]
	v_fma_f64 v[82:83], v[26:27], s[4:5], -v[100:101]
	v_add_f64 v[96:97], v[58:59], v[60:61]
	v_mul_f64 v[98:99], v[94:95], s[16:17]
	v_add_f64 v[20:21], v[20:21], v[36:37]
	v_fma_f64 v[36:37], v[26:27], s[4:5], v[100:101]
	v_mul_f64 v[100:101], v[94:95], s[36:37]
	v_add_f64 v[88:89], v[112:113], v[88:89]
	v_fma_f64 v[112:113], v[26:27], s[18:19], -v[28:29]
	v_fma_f64 v[26:27], v[26:27], s[18:19], v[28:29]
	v_add_f64 v[4:5], v[4:5], v[84:85]
	v_add_f64 v[82:83], v[82:83], v[90:91]
	v_mul_f64 v[90:91], v[94:95], s[30:31]
	v_fma_f64 v[28:29], v[96:97], s[12:13], -v[98:99]
	v_fma_f64 v[98:99], v[96:97], s[12:13], v[98:99]
	v_add_f64 v[36:37], v[36:37], v[38:39]
	v_fma_f64 v[38:39], v[96:97], s[18:19], -v[100:101]
	v_add_f64 v[16:17], v[26:27], v[16:17]
	v_mul_f64 v[26:27], v[94:95], s[34:35]
	v_add_f64 v[92:93], v[4:5], v[86:87]
	v_add_f64 v[4:5], v[132:133], v[122:123]
	v_fma_f64 v[100:101], v[96:97], s[18:19], v[100:101]
	v_add_f64 v[18:19], v[28:29], v[18:19]
	v_add_f64 v[22:23], v[98:99], v[22:23]
	;; [unrolled: 1-line block ×3, first 2 shown]
	v_fma_f64 v[38:39], v[96:97], s[6:7], v[90:91]
	v_mul_f64 v[78:79], v[94:95], s[44:45]
	v_add_f64 v[98:99], v[48:49], -v[52:53]
	v_fma_f64 v[114:115], v[96:97], s[6:7], -v[90:91]
	v_fma_f64 v[90:91], v[96:97], s[10:11], -v[26:27]
	v_fma_f64 v[26:27], v[96:97], s[10:11], v[26:27]
	v_mul_f64 v[94:95], v[94:95], s[40:41]
	v_add_f64 v[4:5], v[112:113], v[4:5]
	v_add_f64 v[32:33], v[100:101], v[32:33]
	;; [unrolled: 1-line block ×3, first 2 shown]
	v_fma_f64 v[38:39], v[96:97], s[24:25], -v[78:79]
	v_add_f64 v[100:101], v[50:51], v[54:55]
	v_mul_f64 v[112:113], v[98:99], s[20:21]
	v_add_f64 v[88:89], v[90:91], v[88:89]
	v_fma_f64 v[78:79], v[96:97], s[24:25], v[78:79]
	v_add_f64 v[20:21], v[26:27], v[20:21]
	v_fma_f64 v[26:27], v[96:97], s[4:5], -v[94:95]
	v_mul_f64 v[90:91], v[98:99], s[28:29]
	v_fma_f64 v[94:95], v[96:97], s[4:5], v[94:95]
	v_add_f64 v[38:39], v[38:39], v[82:83]
	v_fma_f64 v[82:83], v[100:101], s[18:19], -v[112:113]
	v_mul_f64 v[96:97], v[98:99], s[22:23]
	v_add_f64 v[36:37], v[78:79], v[36:37]
	v_fma_f64 v[78:79], v[100:101], s[18:19], v[112:113]
	v_add_f64 v[4:5], v[26:27], v[4:5]
	v_fma_f64 v[26:27], v[100:101], s[10:11], -v[90:91]
	v_fma_f64 v[90:91], v[100:101], s[10:11], v[90:91]
	v_add_f64 v[30:31], v[114:115], v[30:31]
	v_add_f64 v[16:17], v[94:95], v[16:17]
	;; [unrolled: 1-line block ×3, first 2 shown]
	v_fma_f64 v[82:83], v[100:101], s[4:5], -v[96:97]
	v_mul_f64 v[94:95], v[98:99], s[44:45]
	v_add_f64 v[22:23], v[78:79], v[22:23]
	v_fma_f64 v[78:79], v[100:101], s[4:5], v[96:97]
	v_add_f64 v[32:33], v[90:91], v[32:33]
	v_add_f64 v[90:91], v[12:13], -v[42:43]
	v_add_f64 v[26:27], v[26:27], v[28:29]
	v_mul_f64 v[28:29], v[98:99], s[30:31]
	v_add_f64 v[30:31], v[82:83], v[30:31]
	v_fma_f64 v[82:83], v[100:101], s[24:25], -v[94:95]
	v_mul_f64 v[96:97], v[98:99], s[16:17]
	v_add_f64 v[34:35], v[78:79], v[34:35]
	v_fma_f64 v[78:79], v[100:101], s[24:25], v[94:95]
	v_add_f64 v[98:99], v[44:45], v[46:47]
	v_mul_f64 v[112:113], v[90:91], s[26:27]
	v_fma_f64 v[94:95], v[100:101], s[6:7], -v[28:29]
	v_fma_f64 v[28:29], v[100:101], s[6:7], v[28:29]
	v_add_f64 v[82:83], v[82:83], v[88:89]
	v_fma_f64 v[88:89], v[100:101], s[12:13], -v[96:97]
	v_mul_f64 v[114:115], v[90:91], s[30:31]
	v_fma_f64 v[96:97], v[100:101], s[12:13], v[96:97]
	v_add_f64 v[78:79], v[78:79], v[20:21]
	v_fma_f64 v[20:21], v[98:99], s[24:25], -v[112:113]
	v_mul_f64 v[100:101], v[90:91], s[20:21]
	v_add_f64 v[28:29], v[28:29], v[36:37]
	v_fma_f64 v[36:37], v[98:99], s[24:25], v[112:113]
	v_add_f64 v[38:39], v[94:95], v[38:39]
	v_fma_f64 v[94:95], v[98:99], s[6:7], -v[114:115]
	v_add_f64 v[96:97], v[96:97], v[16:17]
	v_fma_f64 v[16:17], v[98:99], s[6:7], v[114:115]
	v_add_f64 v[112:113], v[20:21], v[18:19]
	v_mul_f64 v[18:19], v[90:91], s[40:41]
	v_mul_f64 v[20:21], v[90:91], s[16:17]
	v_add_f64 v[88:89], v[88:89], v[4:5]
	v_add_f64 v[4:5], v[36:37], v[22:23]
	v_mul_f64 v[36:37], v[90:91], s[28:29]
	v_add_f64 v[26:27], v[94:95], v[26:27]
	v_add_f64 v[22:23], v[16:17], v[32:33]
	v_fma_f64 v[16:17], v[98:99], s[18:19], -v[100:101]
	v_fma_f64 v[32:33], v[98:99], s[18:19], v[100:101]
	v_fma_f64 v[90:91], v[98:99], s[4:5], -v[18:19]
	v_fma_f64 v[94:95], v[98:99], s[12:13], -v[20:21]
	v_fma_f64 v[100:101], v[98:99], s[12:13], v[20:21]
	v_fma_f64 v[114:115], v[98:99], s[10:11], -v[36:37]
	v_fma_f64 v[36:37], v[98:99], s[10:11], v[36:37]
	v_fma_f64 v[18:19], v[98:99], s[4:5], v[18:19]
	v_add_f64 v[30:31], v[16:17], v[30:31]
	v_add_f64 v[20:21], v[32:33], v[34:35]
	v_add_f64 v[32:33], v[90:91], v[82:83]
	v_add_f64 v[34:35], v[94:95], v[38:39]
	v_add_f64 v[16:17], v[100:101], v[28:29]
	v_add_f64 v[28:29], v[114:115], v[88:89]
	v_add_f64 v[36:37], v[36:37], v[96:97]
	v_add_f64 v[18:19], v[18:19], v[78:79]
	v_mov_b32_e32 v38, 3
	v_lshlrev_b32_sdwa v25, v38, v25 dst_sel:DWORD dst_unused:UNUSED_PAD src0_sel:DWORD src1_sel:BYTE_0
	v_add3_u32 v78, 0, v24, v25
	v_add_u32_e32 v79, 0xd00, v105
	v_add_u32_e32 v82, 0x1b00, v105
	;; [unrolled: 1-line block ×3, first 2 shown]
	ds_write2_b64 v78, v[92:93], v[112:113] offset1:17
	ds_write2_b64 v78, v[26:27], v[30:31] offset0:34 offset1:51
	ds_write2_b64 v78, v[32:33], v[34:35] offset0:68 offset1:85
	;; [unrolled: 1-line block ×5, first 2 shown]
	ds_write_b64 v78, v[4:5] offset:1632
	s_waitcnt lgkmcnt(0)
	s_barrier
	ds_read2_b64 v[24:27], v105 offset1:221
	ds_read2_b64 v[32:35], v79 offset0:26 offset1:247
	ds_read2_b64 v[28:31], v82 offset0:20 offset1:241
	;; [unrolled: 1-line block ×3, first 2 shown]
	s_and_saveexec_b64 s[46:47], s[0:1]
	s_cbranch_execz .LBB0_17
; %bb.16:
	v_add_u32_e32 v0, 0x400, v105
	ds_read2_b64 v[16:19], v0 offset0:8 offset1:229
	v_add_u32_e32 v0, 0x1200, v105
	ds_read2_b64 v[20:23], v0 offset0:2 offset1:223
	;; [unrolled: 2-line block ×4, first 2 shown]
.LBB0_17:
	s_or_b64 exec, exec, s[46:47]
	v_add_f64 v[88:89], v[40:41], v[110:111]
	v_add_f64 v[92:93], v[72:73], v[66:67]
	v_add_f64 v[80:81], v[80:81], -v[84:85]
	v_add_f64 v[84:85], v[70:71], v[68:69]
	v_add_f64 v[86:87], v[108:109], -v[86:87]
	;; [unrolled: 2-line block ×3, first 2 shown]
	v_add_f64 v[58:59], v[58:59], -v[60:61]
	v_add_f64 v[72:73], v[88:89], v[72:73]
	v_add_f64 v[50:51], v[50:51], -v[54:55]
	v_mul_f64 v[100:101], v[80:81], s[22:23]
	v_mul_f64 v[108:109], v[80:81], s[16:17]
	;; [unrolled: 1-line block ×6, first 2 shown]
	v_add_f64 v[70:71], v[72:73], v[70:71]
	v_mul_f64 v[98:99], v[86:87], s[20:21]
	v_mul_f64 v[86:87], v[86:87], s[26:27]
	;; [unrolled: 1-line block ×3, first 2 shown]
	v_fma_f64 v[122:123], v[90:91], s[6:7], v[76:77]
	v_fma_f64 v[124:125], v[90:91], s[4:5], v[88:89]
	;; [unrolled: 1-line block ×3, first 2 shown]
	v_fma_f64 v[94:95], v[90:91], s[10:11], -v[94:95]
	v_add_f64 v[70:71], v[70:71], v[56:57]
	v_mul_f64 v[110:111], v[80:81], s[36:37]
	v_mul_f64 v[112:113], v[80:81], s[28:29]
	;; [unrolled: 1-line block ×5, first 2 shown]
	v_fma_f64 v[76:77], v[90:91], s[6:7], -v[76:77]
	v_fma_f64 v[88:89], v[90:91], s[4:5], -v[88:89]
	v_add_f64 v[70:71], v[70:71], v[48:49]
	v_fma_f64 v[128:129], v[90:91], s[12:13], v[96:97]
	v_fma_f64 v[96:97], v[90:91], s[12:13], -v[96:97]
	v_fma_f64 v[130:131], v[90:91], s[18:19], v[98:99]
	v_fma_f64 v[98:99], v[90:91], s[18:19], -v[98:99]
	;; [unrolled: 2-line block ×3, first 2 shown]
	v_fma_f64 v[90:91], v[92:93], s[4:5], v[100:101]
	v_add_f64 v[70:71], v[70:71], v[12:13]
	v_fma_f64 v[134:135], v[92:93], s[12:13], v[108:109]
	v_add_f64 v[122:123], v[40:41], v[122:123]
	v_add_f64 v[124:125], v[40:41], v[124:125]
	v_mul_f64 v[118:119], v[74:75], s[42:43]
	v_fma_f64 v[136:137], v[92:93], s[24:25], v[72:73]
	v_fma_f64 v[72:73], v[92:93], s[24:25], -v[72:73]
	v_add_f64 v[126:127], v[40:41], v[126:127]
	v_add_f64 v[70:71], v[70:71], v[42:43]
	;; [unrolled: 1-line block ×3, first 2 shown]
	v_mul_f64 v[120:121], v[74:75], s[30:31]
	v_fma_f64 v[100:101], v[92:93], s[4:5], -v[100:101]
	v_fma_f64 v[108:109], v[92:93], s[12:13], -v[108:109]
	v_fma_f64 v[138:139], v[92:93], s[18:19], v[110:111]
	v_fma_f64 v[110:111], v[92:93], s[18:19], -v[110:111]
	v_fma_f64 v[140:141], v[92:93], s[10:11], v[112:113]
	v_add_f64 v[70:71], v[70:71], v[52:53]
	v_fma_f64 v[112:113], v[92:93], s[10:11], -v[112:113]
	v_fma_f64 v[142:143], v[92:93], s[6:7], v[80:81]
	v_fma_f64 v[80:81], v[92:93], s[6:7], -v[80:81]
	v_fma_f64 v[92:93], v[84:85], s[10:11], v[114:115]
	v_fma_f64 v[144:145], v[84:85], s[24:25], v[116:117]
	v_add_f64 v[76:77], v[40:41], v[76:77]
	v_add_f64 v[88:89], v[40:41], v[88:89]
	;; [unrolled: 1-line block ×12, first 2 shown]
	v_fma_f64 v[146:147], v[84:85], s[12:13], v[118:119]
	v_add_f64 v[90:91], v[136:137], v[126:127]
	v_add_f64 v[72:73], v[72:73], v[94:95]
	;; [unrolled: 1-line block ×8, first 2 shown]
	v_mul_f64 v[86:87], v[74:75], s[22:23]
	v_fma_f64 v[92:93], v[84:85], s[6:7], -v[120:121]
	v_add_f64 v[60:61], v[146:147], v[90:91]
	v_fma_f64 v[90:91], v[84:85], s[6:7], v[120:121]
	v_add_f64 v[56:57], v[56:57], v[62:63]
	v_add_f64 v[64:65], v[66:67], v[64:65]
	v_fma_f64 v[66:67], v[84:85], s[12:13], -v[118:119]
	v_mul_f64 v[62:63], v[58:59], s[16:17]
	v_fma_f64 v[114:115], v[84:85], s[10:11], -v[114:115]
	v_add_f64 v[76:77], v[100:101], v[76:77]
	v_add_f64 v[96:97], v[140:141], v[130:131]
	;; [unrolled: 1-line block ×4, first 2 shown]
	v_mul_f64 v[92:93], v[58:59], s[36:37]
	v_add_f64 v[66:67], v[66:67], v[72:73]
	v_mul_f64 v[72:73], v[74:75], s[20:21]
	v_fma_f64 v[74:75], v[84:85], s[4:5], v[86:87]
	v_fma_f64 v[86:87], v[84:85], s[4:5], -v[86:87]
	v_fma_f64 v[116:117], v[84:85], s[24:25], -v[116:117]
	v_add_f64 v[90:91], v[90:91], v[94:95]
	v_add_f64 v[76:77], v[114:115], v[76:77]
	;; [unrolled: 1-line block ×4, first 2 shown]
	v_fma_f64 v[94:95], v[84:85], s[18:19], v[72:73]
	v_fma_f64 v[72:73], v[84:85], s[18:19], -v[72:73]
	v_fma_f64 v[84:85], v[56:57], s[12:13], v[62:63]
	v_add_f64 v[74:75], v[74:75], v[96:97]
	v_add_f64 v[86:87], v[86:87], v[98:99]
	v_mul_f64 v[96:97], v[58:59], s[30:31]
	v_fma_f64 v[62:63], v[56:57], s[12:13], -v[62:63]
	v_fma_f64 v[98:99], v[56:57], s[18:19], v[92:93]
	v_add_f64 v[88:89], v[116:117], v[88:89]
	v_add_f64 v[40:41], v[72:73], v[40:41]
	;; [unrolled: 1-line block ×3, first 2 shown]
	v_mul_f64 v[84:85], v[58:59], s[34:35]
	v_fma_f64 v[72:73], v[56:57], s[18:19], -v[92:93]
	v_fma_f64 v[92:93], v[56:57], s[6:7], v[96:97]
	v_add_f64 v[62:63], v[62:63], v[76:77]
	v_add_f64 v[76:77], v[98:99], v[80:81]
	v_fma_f64 v[80:81], v[56:57], s[6:7], -v[96:97]
	v_mul_f64 v[96:97], v[58:59], s[44:45]
	v_mul_f64 v[58:59], v[58:59], s[40:41]
	v_fma_f64 v[54:55], v[56:57], s[10:11], v[84:85]
	v_fma_f64 v[84:85], v[56:57], s[10:11], -v[84:85]
	v_mul_f64 v[52:53], v[50:51], s[20:21]
	v_add_f64 v[72:73], v[72:73], v[88:89]
	v_add_f64 v[100:101], v[142:143], v[132:133]
	;; [unrolled: 1-line block ×3, first 2 shown]
	v_fma_f64 v[80:81], v[56:57], s[24:25], v[96:97]
	v_fma_f64 v[88:89], v[56:57], s[24:25], -v[96:97]
	v_add_f64 v[54:55], v[54:55], v[90:91]
	v_add_f64 v[68:69], v[84:85], v[68:69]
	v_fma_f64 v[84:85], v[56:57], s[4:5], v[58:59]
	v_mul_f64 v[90:91], v[50:51], s[28:29]
	v_fma_f64 v[56:57], v[56:57], s[4:5], -v[58:59]
	v_add_f64 v[44:45], v[44:45], -v[46:47]
	v_add_f64 v[58:59], v[80:81], v[74:75]
	v_fma_f64 v[74:75], v[48:49], s[18:19], v[52:53]
	v_mul_f64 v[80:81], v[50:51], s[22:23]
	v_fma_f64 v[52:53], v[48:49], s[18:19], -v[52:53]
	v_add_f64 v[86:87], v[88:89], v[86:87]
	v_fma_f64 v[88:89], v[48:49], s[10:11], v[90:91]
	v_add_f64 v[40:41], v[56:57], v[40:41]
	v_fma_f64 v[56:57], v[48:49], s[10:11], -v[90:91]
	v_mul_f64 v[90:91], v[50:51], s[44:45]
	v_add_f64 v[94:95], v[94:95], v[100:101]
	v_add_f64 v[60:61], v[92:93], v[60:61]
	;; [unrolled: 1-line block ×3, first 2 shown]
	v_fma_f64 v[62:63], v[48:49], s[4:5], -v[80:81]
	v_add_f64 v[70:71], v[74:75], v[70:71]
	v_fma_f64 v[74:75], v[48:49], s[4:5], v[80:81]
	v_mul_f64 v[80:81], v[50:51], s[30:31]
	v_fma_f64 v[46:47], v[48:49], s[24:25], v[90:91]
	v_mul_f64 v[50:51], v[50:51], s[16:17]
	v_add_f64 v[42:43], v[12:13], v[42:43]
	v_mul_f64 v[12:13], v[44:45], s[26:27]
	v_add_f64 v[62:63], v[62:63], v[66:67]
	v_fma_f64 v[66:67], v[48:49], s[24:25], -v[90:91]
	v_add_f64 v[84:85], v[84:85], v[94:95]
	v_add_f64 v[56:57], v[56:57], v[72:73]
	;; [unrolled: 1-line block ×3, first 2 shown]
	v_fma_f64 v[72:73], v[48:49], s[6:7], v[80:81]
	v_fma_f64 v[74:75], v[48:49], s[6:7], -v[80:81]
	v_add_f64 v[54:55], v[46:47], v[54:55]
	v_fma_f64 v[46:47], v[48:49], s[12:13], v[50:51]
	v_fma_f64 v[48:49], v[48:49], s[12:13], -v[50:51]
	v_mul_f64 v[50:51], v[44:45], s[30:31]
	v_add_f64 v[66:67], v[66:67], v[68:69]
	v_fma_f64 v[68:69], v[42:43], s[24:25], v[12:13]
	v_fma_f64 v[12:13], v[42:43], s[24:25], -v[12:13]
	v_add_f64 v[76:77], v[88:89], v[76:77]
	v_add_f64 v[58:59], v[72:73], v[58:59]
	;; [unrolled: 1-line block ×5, first 2 shown]
	v_fma_f64 v[46:47], v[42:43], s[6:7], v[50:51]
	v_fma_f64 v[48:49], v[42:43], s[6:7], -v[50:51]
	v_mul_f64 v[50:51], v[44:45], s[20:21]
	v_add_f64 v[68:69], v[68:69], v[70:71]
	v_mul_f64 v[70:71], v[44:45], s[40:41]
	v_add_f64 v[12:13], v[12:13], v[52:53]
	v_mul_f64 v[52:53], v[44:45], s[16:17]
	v_mul_f64 v[44:45], v[44:45], s[28:29]
	v_add_f64 v[76:77], v[46:47], v[76:77]
	v_add_f64 v[46:47], v[48:49], v[56:57]
	v_fma_f64 v[48:49], v[42:43], s[18:19], v[50:51]
	v_fma_f64 v[50:51], v[42:43], s[18:19], -v[50:51]
	v_fma_f64 v[56:57], v[42:43], s[4:5], v[70:71]
	v_fma_f64 v[70:71], v[42:43], s[4:5], -v[70:71]
	v_fma_f64 v[80:81], v[42:43], s[12:13], v[52:53]
	v_fma_f64 v[84:85], v[42:43], s[10:11], v[44:45]
	v_fma_f64 v[86:87], v[42:43], s[10:11], -v[44:45]
	v_fma_f64 v[52:53], v[42:43], s[12:13], -v[52:53]
	v_add_f64 v[48:49], v[48:49], v[60:61]
	v_add_f64 v[44:45], v[50:51], v[62:63]
	;; [unrolled: 1-line block ×8, first 2 shown]
	s_waitcnt lgkmcnt(0)
	s_barrier
	ds_write2_b64 v78, v[64:65], v[68:69] offset1:17
	ds_write2_b64 v78, v[76:77], v[48:49] offset0:34 offset1:51
	ds_write2_b64 v78, v[50:51], v[54:55] offset0:68 offset1:85
	;; [unrolled: 1-line block ×5, first 2 shown]
	ds_write_b64 v78, v[12:13] offset:1632
	s_waitcnt lgkmcnt(0)
	s_barrier
	ds_read2_b64 v[48:51], v105 offset1:221
	ds_read2_b64 v[52:55], v79 offset0:26 offset1:247
	ds_read2_b64 v[60:63], v82 offset0:20 offset1:241
	;; [unrolled: 1-line block ×3, first 2 shown]
	s_and_saveexec_b64 s[4:5], s[0:1]
	s_cbranch_execz .LBB0_19
; %bb.18:
	v_add_u32_e32 v8, 0x400, v105
	ds_read2_b64 v[40:43], v8 offset0:8 offset1:229
	v_add_u32_e32 v8, 0x1200, v105
	ds_read2_b64 v[44:47], v8 offset0:2 offset1:223
	;; [unrolled: 2-line block ×4, first 2 shown]
.LBB0_19:
	s_or_b64 exec, exec, s[4:5]
	s_and_saveexec_b64 s[4:5], vcc
	s_cbranch_execz .LBB0_22
; %bb.20:
	v_mul_u32_u24_e32 v64, 7, v104
	v_lshlrev_b32_e32 v64, 4, v64
	global_load_dwordx4 v[73:76], v64, s[8:9] offset:3312
	global_load_dwordx4 v[77:80], v64, s[8:9] offset:3280
	global_load_dwordx4 v[81:84], v64, s[8:9] offset:3344
	global_load_dwordx4 v[85:88], v64, s[8:9] offset:3264
	global_load_dwordx4 v[89:92], v64, s[8:9] offset:3328
	global_load_dwordx4 v[93:96], v64, s[8:9] offset:3296
	global_load_dwordx4 v[97:100], v64, s[8:9] offset:3360
	v_mul_lo_u32 v70, s3, v106
	v_mul_lo_u32 v71, s2, v107
	v_mad_u64_u32 v[64:65], s[2:3], s2, v106, 0
	v_lshlrev_b64 v[66:67], 4, v[102:103]
	s_mov_b32 s2, 0x667f3bcd
	s_mov_b32 s3, 0x3fe6a09e
	;; [unrolled: 1-line block ×4, first 2 shown]
	v_add3_u32 v65, v65, v71, v70
	v_lshlrev_b64 v[64:65], 4, v[64:65]
	v_mov_b32_e32 v72, s15
	v_add_co_u32_e32 v64, vcc, s14, v64
	v_mov_b32_e32 v105, 0
	v_addc_co_u32_e32 v65, vcc, v72, v65, vcc
	v_lshlrev_b64 v[68:69], 4, v[104:105]
	v_add_co_u32_e32 v64, vcc, v64, v66
	v_addc_co_u32_e32 v65, vcc, v65, v67, vcc
	v_add_co_u32_e32 v64, vcc, v64, v68
	s_movk_i32 s6, 0x1000
	v_addc_co_u32_e32 v65, vcc, v65, v69, vcc
	v_add_co_u32_e32 v66, vcc, s6, v64
	s_movk_i32 s7, 0x2000
	;; [unrolled: 3-line block ×4, first 2 shown]
	v_addc_co_u32_e32 v71, vcc, 0, v65, vcc
	v_add_co_u32_e32 v72, vcc, s11, v64
	s_waitcnt vmcnt(6)
	v_mul_f64 v[101:102], v[28:29], v[75:76]
	s_waitcnt vmcnt(5) lgkmcnt(2)
	v_mul_f64 v[106:107], v[52:53], v[79:80]
	s_waitcnt vmcnt(4) lgkmcnt(0)
	v_mul_f64 v[108:109], v[56:57], v[83:84]
	s_waitcnt vmcnt(3)
	v_mul_f64 v[110:111], v[50:51], v[87:88]
	s_waitcnt vmcnt(2)
	;; [unrolled: 2-line block ×4, first 2 shown]
	v_mul_f64 v[116:117], v[38:39], v[99:100]
	v_mul_f64 v[87:88], v[26:27], v[87:88]
	;; [unrolled: 1-line block ×8, first 2 shown]
	v_fma_f64 v[60:61], v[60:61], v[73:74], v[101:102]
	v_fma_f64 v[32:33], v[32:33], v[77:78], -v[106:107]
	v_fma_f64 v[36:37], v[36:37], v[81:82], -v[108:109]
	;; [unrolled: 1-line block ×4, first 2 shown]
	v_fma_f64 v[54:55], v[54:55], v[93:94], v[114:115]
	v_fma_f64 v[50:51], v[50:51], v[85:86], v[87:88]
	;; [unrolled: 1-line block ×3, first 2 shown]
	v_fma_f64 v[34:35], v[34:35], v[93:94], -v[95:96]
	v_fma_f64 v[38:39], v[38:39], v[97:98], -v[99:100]
	v_fma_f64 v[52:53], v[52:53], v[77:78], v[79:80]
	v_fma_f64 v[56:57], v[56:57], v[81:82], v[83:84]
	;; [unrolled: 1-line block ×3, first 2 shown]
	v_fma_f64 v[28:29], v[28:29], v[73:74], -v[75:76]
	v_add_f64 v[60:61], v[48:49], -v[60:61]
	v_add_f64 v[36:37], v[32:33], -v[36:37]
	v_add_f64 v[30:31], v[26:27], -v[30:31]
	v_add_f64 v[62:63], v[50:51], -v[62:63]
	v_add_f64 v[38:39], v[34:35], -v[38:39]
	v_add_f64 v[56:57], v[52:53], -v[56:57]
	v_add_f64 v[58:59], v[54:55], -v[58:59]
	v_add_f64 v[28:29], v[24:25], -v[28:29]
	v_fma_f64 v[48:49], v[48:49], 2.0, -v[60:61]
	v_add_f64 v[74:75], v[60:61], v[36:37]
	v_fma_f64 v[26:27], v[26:27], 2.0, -v[30:31]
	v_fma_f64 v[32:33], v[32:33], 2.0, -v[36:37]
	v_add_f64 v[76:77], v[62:63], v[38:39]
	v_fma_f64 v[52:53], v[52:53], 2.0, -v[56:57]
	v_fma_f64 v[34:35], v[34:35], 2.0, -v[38:39]
	;; [unrolled: 1-line block ×5, first 2 shown]
	v_add_f64 v[36:37], v[30:31], -v[58:59]
	v_add_f64 v[56:57], v[28:29], -v[56:57]
	v_fma_f64 v[58:59], v[60:61], 2.0, -v[74:75]
	v_add_f64 v[52:53], v[48:49], -v[52:53]
	v_add_f64 v[34:35], v[26:27], -v[34:35]
	;; [unrolled: 1-line block ×3, first 2 shown]
	v_fma_f64 v[54:55], v[62:63], 2.0, -v[76:77]
	v_add_f64 v[50:51], v[38:39], -v[50:51]
	v_fma_f64 v[32:33], v[30:31], 2.0, -v[36:37]
	v_fma_f64 v[78:79], v[28:29], 2.0, -v[56:57]
	v_fma_f64 v[28:29], v[76:77], s[2:3], v[74:75]
	v_fma_f64 v[62:63], v[36:37], s[2:3], v[56:57]
	v_fma_f64 v[82:83], v[48:49], 2.0, -v[52:53]
	v_fma_f64 v[84:85], v[24:25], 2.0, -v[60:61]
	;; [unrolled: 1-line block ×4, first 2 shown]
	v_fma_f64 v[80:81], v[54:55], s[4:5], v[58:59]
	v_fma_f64 v[86:87], v[32:33], s[4:5], v[78:79]
	;; [unrolled: 1-line block ×3, first 2 shown]
	v_add_f64 v[30:31], v[52:53], v[34:35]
	v_add_f64 v[28:29], v[60:61], -v[50:51]
	v_fma_f64 v[24:25], v[76:77], s[4:5], v[62:63]
	v_add_f64 v[36:37], v[84:85], -v[48:49]
	v_add_f64 v[38:39], v[82:83], -v[38:39]
	v_fma_f64 v[34:35], v[32:33], s[2:3], v[80:81]
	v_fma_f64 v[32:33], v[54:55], s[4:5], v[86:87]
	v_fma_f64 v[50:51], v[74:75], 2.0, -v[26:27]
	v_fma_f64 v[54:55], v[52:53], 2.0, -v[30:31]
	;; [unrolled: 1-line block ×6, first 2 shown]
	v_addc_co_u32_e32 v73, vcc, 0, v65, vcc
	v_fma_f64 v[58:59], v[58:59], 2.0, -v[34:35]
	v_fma_f64 v[56:57], v[78:79], 2.0, -v[32:33]
	v_add_co_u32_e32 v74, vcc, 0x5000, v64
	v_addc_co_u32_e32 v75, vcc, 0, v65, vcc
	global_store_dwordx4 v[66:67], v[52:55], off offset:2976
	global_store_dwordx4 v[68:69], v[48:51], off offset:2416
	;; [unrolled: 1-line block ×4, first 2 shown]
	global_store_dwordx4 v[64:65], v[60:63], off
	global_store_dwordx4 v[64:65], v[56:59], off offset:3536
	global_store_dwordx4 v[74:75], v[28:31], off offset:736
	s_nop 0
	v_add_co_u32_e32 v28, vcc, 0x6000, v64
	v_addc_co_u32_e32 v29, vcc, 0, v65, vcc
	global_store_dwordx4 v[28:29], v[24:27], off offset:176
	s_and_b64 exec, exec, s[0:1]
	s_cbranch_execz .LBB0_22
; %bb.21:
	v_mov_b32_e32 v24, 0xffffffab
	v_mov_b32_e32 v25, 0x88
	v_cndmask_b32_e64 v24, v24, v25, s[0:1]
	v_add_u32_e32 v24, v104, v24
	v_mul_i32_i24_e32 v104, 7, v24
	v_lshlrev_b64 v[24:25], 4, v[104:105]
	v_mov_b32_e32 v26, s9
	v_add_co_u32_e32 v60, vcc, s8, v24
	v_addc_co_u32_e32 v61, vcc, v26, v25, vcc
	global_load_dwordx4 v[24:27], v[60:61], off offset:3264
	global_load_dwordx4 v[28:31], v[60:61], off offset:3280
	;; [unrolled: 1-line block ×7, first 2 shown]
	v_add_co_u32_e32 v60, vcc, 0x5000, v64
	v_addc_co_u32_e32 v61, vcc, 0, v65, vcc
	v_add_co_u32_e32 v62, vcc, 0x6000, v64
	v_addc_co_u32_e32 v63, vcc, 0, v65, vcc
	s_waitcnt vmcnt(6)
	v_mul_f64 v[74:75], v[42:43], v[26:27]
	v_mul_f64 v[26:27], v[18:19], v[26:27]
	s_waitcnt vmcnt(5)
	v_mul_f64 v[76:77], v[44:45], v[30:31]
	v_mul_f64 v[30:31], v[20:21], v[30:31]
	s_waitcnt vmcnt(4)
	v_mul_f64 v[78:79], v[46:47], v[34:35]
	v_mul_f64 v[34:35], v[22:23], v[34:35]
	s_waitcnt vmcnt(3)
	v_mul_f64 v[80:81], v[12:13], v[38:39]
	v_mul_f64 v[38:39], v[4:5], v[38:39]
	s_waitcnt vmcnt(2)
	v_mul_f64 v[82:83], v[14:15], v[50:51]
	v_mul_f64 v[50:51], v[6:7], v[50:51]
	s_waitcnt vmcnt(1)
	v_mul_f64 v[84:85], v[8:9], v[54:55]
	v_mul_f64 v[54:55], v[0:1], v[54:55]
	s_waitcnt vmcnt(0)
	v_mul_f64 v[86:87], v[10:11], v[58:59]
	v_mul_f64 v[58:59], v[2:3], v[58:59]
	v_fma_f64 v[18:19], v[18:19], v[24:25], -v[74:75]
	v_fma_f64 v[24:25], v[42:43], v[24:25], v[26:27]
	v_fma_f64 v[20:21], v[20:21], v[28:29], -v[76:77]
	v_fma_f64 v[26:27], v[44:45], v[28:29], v[30:31]
	;; [unrolled: 2-line block ×7, first 2 shown]
	v_add_f64 v[4:5], v[16:17], -v[4:5]
	v_add_f64 v[12:13], v[40:41], -v[12:13]
	;; [unrolled: 1-line block ×8, first 2 shown]
	v_fma_f64 v[16:17], v[16:17], 2.0, -v[4:5]
	v_fma_f64 v[30:31], v[40:41], 2.0, -v[12:13]
	;; [unrolled: 1-line block ×6, first 2 shown]
	v_add_f64 v[32:33], v[4:5], -v[8:9]
	v_add_f64 v[34:35], v[12:13], v[0:1]
	v_fma_f64 v[0:1], v[22:23], 2.0, -v[2:3]
	v_fma_f64 v[8:9], v[28:29], 2.0, -v[10:11]
	v_add_f64 v[10:11], v[6:7], -v[10:11]
	v_add_f64 v[22:23], v[14:15], v[2:3]
	v_add_f64 v[20:21], v[16:17], -v[20:21]
	v_add_f64 v[26:27], v[30:31], -v[26:27]
	v_fma_f64 v[28:29], v[4:5], 2.0, -v[32:33]
	v_fma_f64 v[36:37], v[12:13], 2.0, -v[34:35]
	v_add_f64 v[2:3], v[18:19], -v[0:1]
	v_add_f64 v[0:1], v[24:25], -v[8:9]
	v_fma_f64 v[38:39], v[6:7], 2.0, -v[10:11]
	v_fma_f64 v[12:13], v[14:15], 2.0, -v[22:23]
	v_fma_f64 v[4:5], v[10:11], s[2:3], v[32:33]
	v_fma_f64 v[6:7], v[22:23], s[2:3], v[34:35]
	v_fma_f64 v[40:41], v[16:17], 2.0, -v[20:21]
	v_fma_f64 v[30:31], v[30:31], 2.0, -v[26:27]
	;; [unrolled: 1-line block ×4, first 2 shown]
	v_fma_f64 v[16:17], v[38:39], s[4:5], v[28:29]
	v_fma_f64 v[18:19], v[12:13], s[4:5], v[36:37]
	v_add_f64 v[0:1], v[20:21], -v[0:1]
	v_add_f64 v[2:3], v[26:27], v[2:3]
	v_fma_f64 v[4:5], v[22:23], s[4:5], v[4:5]
	v_fma_f64 v[6:7], v[10:11], s[2:3], v[6:7]
	v_add_f64 v[8:9], v[40:41], -v[8:9]
	v_add_f64 v[10:11], v[30:31], -v[14:15]
	v_fma_f64 v[12:13], v[12:13], s[4:5], v[16:17]
	v_fma_f64 v[14:15], v[38:39], s[2:3], v[18:19]
	v_fma_f64 v[16:17], v[20:21], 2.0, -v[0:1]
	v_fma_f64 v[18:19], v[26:27], 2.0, -v[2:3]
	;; [unrolled: 1-line block ×8, first 2 shown]
	global_store_dwordx4 v[60:61], v[0:3], off offset:2912
	global_store_dwordx4 v[68:69], v[16:19], off offset:1056
	;; [unrolled: 1-line block ×8, first 2 shown]
.LBB0_22:
	s_endpgm
	.section	.rodata,"a",@progbits
	.p2align	6, 0x0
	.amdhsa_kernel fft_rtc_fwd_len1768_factors_17_13_8_wgs_136_tpt_136_halfLds_dp_op_CI_CI_unitstride_sbrr_dirReg
		.amdhsa_group_segment_fixed_size 0
		.amdhsa_private_segment_fixed_size 0
		.amdhsa_kernarg_size 104
		.amdhsa_user_sgpr_count 6
		.amdhsa_user_sgpr_private_segment_buffer 1
		.amdhsa_user_sgpr_dispatch_ptr 0
		.amdhsa_user_sgpr_queue_ptr 0
		.amdhsa_user_sgpr_kernarg_segment_ptr 1
		.amdhsa_user_sgpr_dispatch_id 0
		.amdhsa_user_sgpr_flat_scratch_init 0
		.amdhsa_user_sgpr_private_segment_size 0
		.amdhsa_uses_dynamic_stack 0
		.amdhsa_system_sgpr_private_segment_wavefront_offset 0
		.amdhsa_system_sgpr_workgroup_id_x 1
		.amdhsa_system_sgpr_workgroup_id_y 0
		.amdhsa_system_sgpr_workgroup_id_z 0
		.amdhsa_system_sgpr_workgroup_info 0
		.amdhsa_system_vgpr_workitem_id 0
		.amdhsa_next_free_vgpr 254
		.amdhsa_next_free_sgpr 60
		.amdhsa_reserve_vcc 1
		.amdhsa_reserve_flat_scratch 0
		.amdhsa_float_round_mode_32 0
		.amdhsa_float_round_mode_16_64 0
		.amdhsa_float_denorm_mode_32 3
		.amdhsa_float_denorm_mode_16_64 3
		.amdhsa_dx10_clamp 1
		.amdhsa_ieee_mode 1
		.amdhsa_fp16_overflow 0
		.amdhsa_exception_fp_ieee_invalid_op 0
		.amdhsa_exception_fp_denorm_src 0
		.amdhsa_exception_fp_ieee_div_zero 0
		.amdhsa_exception_fp_ieee_overflow 0
		.amdhsa_exception_fp_ieee_underflow 0
		.amdhsa_exception_fp_ieee_inexact 0
		.amdhsa_exception_int_div_zero 0
	.end_amdhsa_kernel
	.text
.Lfunc_end0:
	.size	fft_rtc_fwd_len1768_factors_17_13_8_wgs_136_tpt_136_halfLds_dp_op_CI_CI_unitstride_sbrr_dirReg, .Lfunc_end0-fft_rtc_fwd_len1768_factors_17_13_8_wgs_136_tpt_136_halfLds_dp_op_CI_CI_unitstride_sbrr_dirReg
                                        ; -- End function
	.section	.AMDGPU.csdata,"",@progbits
; Kernel info:
; codeLenInByte = 15024
; NumSgprs: 64
; NumVgprs: 254
; ScratchSize: 0
; MemoryBound: 1
; FloatMode: 240
; IeeeMode: 1
; LDSByteSize: 0 bytes/workgroup (compile time only)
; SGPRBlocks: 7
; VGPRBlocks: 63
; NumSGPRsForWavesPerEU: 64
; NumVGPRsForWavesPerEU: 254
; Occupancy: 1
; WaveLimiterHint : 1
; COMPUTE_PGM_RSRC2:SCRATCH_EN: 0
; COMPUTE_PGM_RSRC2:USER_SGPR: 6
; COMPUTE_PGM_RSRC2:TRAP_HANDLER: 0
; COMPUTE_PGM_RSRC2:TGID_X_EN: 1
; COMPUTE_PGM_RSRC2:TGID_Y_EN: 0
; COMPUTE_PGM_RSRC2:TGID_Z_EN: 0
; COMPUTE_PGM_RSRC2:TIDIG_COMP_CNT: 0
	.type	__hip_cuid_4b5686c0dac44367,@object ; @__hip_cuid_4b5686c0dac44367
	.section	.bss,"aw",@nobits
	.globl	__hip_cuid_4b5686c0dac44367
__hip_cuid_4b5686c0dac44367:
	.byte	0                               ; 0x0
	.size	__hip_cuid_4b5686c0dac44367, 1

	.ident	"AMD clang version 19.0.0git (https://github.com/RadeonOpenCompute/llvm-project roc-6.4.0 25133 c7fe45cf4b819c5991fe208aaa96edf142730f1d)"
	.section	".note.GNU-stack","",@progbits
	.addrsig
	.addrsig_sym __hip_cuid_4b5686c0dac44367
	.amdgpu_metadata
---
amdhsa.kernels:
  - .args:
      - .actual_access:  read_only
        .address_space:  global
        .offset:         0
        .size:           8
        .value_kind:     global_buffer
      - .offset:         8
        .size:           8
        .value_kind:     by_value
      - .actual_access:  read_only
        .address_space:  global
        .offset:         16
        .size:           8
        .value_kind:     global_buffer
      - .actual_access:  read_only
        .address_space:  global
        .offset:         24
        .size:           8
        .value_kind:     global_buffer
      - .actual_access:  read_only
        .address_space:  global
        .offset:         32
        .size:           8
        .value_kind:     global_buffer
      - .offset:         40
        .size:           8
        .value_kind:     by_value
      - .actual_access:  read_only
        .address_space:  global
        .offset:         48
        .size:           8
        .value_kind:     global_buffer
      - .actual_access:  read_only
        .address_space:  global
        .offset:         56
        .size:           8
        .value_kind:     global_buffer
      - .offset:         64
        .size:           4
        .value_kind:     by_value
      - .actual_access:  read_only
        .address_space:  global
        .offset:         72
        .size:           8
        .value_kind:     global_buffer
      - .actual_access:  read_only
        .address_space:  global
        .offset:         80
        .size:           8
        .value_kind:     global_buffer
      - .actual_access:  read_only
        .address_space:  global
        .offset:         88
        .size:           8
        .value_kind:     global_buffer
      - .actual_access:  write_only
        .address_space:  global
        .offset:         96
        .size:           8
        .value_kind:     global_buffer
    .group_segment_fixed_size: 0
    .kernarg_segment_align: 8
    .kernarg_segment_size: 104
    .language:       OpenCL C
    .language_version:
      - 2
      - 0
    .max_flat_workgroup_size: 136
    .name:           fft_rtc_fwd_len1768_factors_17_13_8_wgs_136_tpt_136_halfLds_dp_op_CI_CI_unitstride_sbrr_dirReg
    .private_segment_fixed_size: 0
    .sgpr_count:     64
    .sgpr_spill_count: 0
    .symbol:         fft_rtc_fwd_len1768_factors_17_13_8_wgs_136_tpt_136_halfLds_dp_op_CI_CI_unitstride_sbrr_dirReg.kd
    .uniform_work_group_size: 1
    .uses_dynamic_stack: false
    .vgpr_count:     254
    .vgpr_spill_count: 0
    .wavefront_size: 64
amdhsa.target:   amdgcn-amd-amdhsa--gfx906
amdhsa.version:
  - 1
  - 2
...

	.end_amdgpu_metadata
